;; amdgpu-corpus repo=ROCm/hip-tests kind=compiled arch=gfx1100 opt=O3
	.text
	.amdgcn_target "amdgcn-amd-amdhsa--gfx1100"
	.amdhsa_code_object_version 6
	.protected	_Z11kernel_shflPiS_ii   ; -- Begin function _Z11kernel_shflPiS_ii
	.globl	_Z11kernel_shflPiS_ii
	.p2align	8
	.type	_Z11kernel_shflPiS_ii,@function
_Z11kernel_shflPiS_ii:                  ; @_Z11kernel_shflPiS_ii
; %bb.0:
	s_clause 0x1
	s_load_b64 s[4:5], s[0:1], 0x10
	s_load_b32 s2, s[0:1], 0x24
	s_waitcnt lgkmcnt(0)
	s_abs_i32 s3, s5
	s_and_b32 s2, s2, 0xffff
	v_cvt_f32_u32_e32 v1, s3
	s_sub_i32 s5, 0, s3
	s_delay_alu instid0(VALU_DEP_1) | instskip(SKIP_2) | instid1(VALU_DEP_1)
	v_rcp_iflag_f32_e32 v1, v1
	s_waitcnt_depctr 0xfff
	v_mul_f32_e32 v1, 0x4f7ffffe, v1
	v_cvt_u32_f32_e32 v3, v1
	v_mad_u64_u32 v[1:2], null, s15, s2, v[0:1]
	s_mov_b32 s2, exec_lo
	s_delay_alu instid0(VALU_DEP_2) | instskip(NEXT) | instid1(VALU_DEP_2)
	v_mul_lo_u32 v4, s5, v3
	v_sub_nc_u32_e32 v2, 0, v1
	s_delay_alu instid0(VALU_DEP_2) | instskip(NEXT) | instid1(VALU_DEP_2)
	v_mul_hi_u32 v0, v3, v4
	v_max_i32_e32 v2, v1, v2
	v_ashrrev_i32_e32 v1, 31, v1
	s_delay_alu instid0(VALU_DEP_3) | instskip(NEXT) | instid1(VALU_DEP_1)
	v_add_nc_u32_e32 v0, v3, v0
	v_mul_hi_u32 v0, v2, v0
	s_delay_alu instid0(VALU_DEP_1) | instskip(NEXT) | instid1(VALU_DEP_1)
	v_mul_lo_u32 v0, v0, s3
	v_sub_nc_u32_e32 v0, v2, v0
	s_delay_alu instid0(VALU_DEP_1) | instskip(SKIP_1) | instid1(VALU_DEP_2)
	v_subrev_nc_u32_e32 v2, s3, v0
	v_cmp_le_u32_e32 vcc_lo, s3, v0
	v_cndmask_b32_e32 v0, v0, v2, vcc_lo
	s_delay_alu instid0(VALU_DEP_1) | instskip(SKIP_1) | instid1(VALU_DEP_2)
	v_subrev_nc_u32_e32 v2, s3, v0
	v_cmp_le_u32_e32 vcc_lo, s3, v0
	v_cndmask_b32_e32 v0, v0, v2, vcc_lo
	s_delay_alu instid0(VALU_DEP_1) | instskip(NEXT) | instid1(VALU_DEP_1)
	v_xor_b32_e32 v0, v0, v1
	v_sub_nc_u32_e32 v0, v0, v1
	s_delay_alu instid0(VALU_DEP_1)
	v_cmpx_eq_u32_e32 0, v0
	s_cbranch_execz .LBB0_10
; %bb.1:
	s_load_b128 s[0:3], s[0:1], 0x0
	v_mbcnt_lo_u32_b32 v0, exec_lo, 0
	s_abs_i32 s6, s4
	s_ashr_i32 s4, s4, 31
	s_delay_alu instid0(VALU_DEP_1) | instskip(SKIP_3) | instid1(SALU_CYCLE_1)
	v_lshlrev_b32_e32 v0, 2, v0
	s_waitcnt lgkmcnt(0)
	global_load_b32 v1, v0, s[0:1]
	s_bcnt1_i32_b32 s0, exec_lo
	v_cvt_f32_ubyte0_e32 v2, s0
	s_sub_i32 s5, 0, s0
	s_delay_alu instid0(VALU_DEP_1) | instskip(SKIP_2) | instid1(VALU_DEP_1)
	v_rcp_iflag_f32_e32 v2, v2
	s_waitcnt_depctr 0xfff
	v_mul_f32_e32 v2, 0x4f7ffffe, v2
	v_cvt_u32_f32_e32 v2, v2
	s_delay_alu instid0(VALU_DEP_1) | instskip(NEXT) | instid1(VALU_DEP_1)
	v_readfirstlane_b32 s1, v2
	s_mul_i32 s5, s5, s1
	s_delay_alu instid0(SALU_CYCLE_1) | instskip(NEXT) | instid1(SALU_CYCLE_1)
	s_mul_hi_u32 s5, s1, s5
	s_add_i32 s1, s1, s5
	s_delay_alu instid0(SALU_CYCLE_1) | instskip(NEXT) | instid1(SALU_CYCLE_1)
	s_mul_hi_u32 s1, s6, s1
	s_mul_i32 s1, s1, s0
	s_delay_alu instid0(SALU_CYCLE_1) | instskip(NEXT) | instid1(SALU_CYCLE_1)
	s_sub_i32 s1, s6, s1
	s_sub_i32 s5, s1, s0
	s_cmp_ge_u32 s1, s0
	s_cselect_b32 s1, s5, s1
	s_delay_alu instid0(SALU_CYCLE_1) | instskip(SKIP_4) | instid1(SALU_CYCLE_1)
	s_sub_i32 s5, s1, s0
	s_cmp_ge_u32 s1, s0
	s_cselect_b32 s0, s5, s1
	s_mov_b32 s5, -1
	s_xor_b32 s0, s0, s4
	s_sub_i32 s0, s0, s4
	s_cmp_eq_u32 exec_lo, -1
	v_mov_b32_e32 v2, s0
	s_cbranch_scc1 .LBB0_9
; %bb.2:
	v_add_co_u32 v2, s4, s0, 1
	s_delay_alu instid0(VALU_DEP_1) | instskip(NEXT) | instid1(VALU_DEP_1)
	s_and_not1_b32 vcc_lo, exec_lo, s4
                                        ; implicit-def: $sgpr6
                                        ; implicit-def: $sgpr4
	v_readfirstlane_b32 s1, v2
	s_cbranch_vccz .LBB0_5
; %bb.3:
	s_mov_b32 s4, exec_lo
	s_mov_b32 s5, 0
	s_cmp_gt_i32 s0, -2
	s_mov_b32 s6, 0
	s_cbranch_scc1 .LBB0_5
; %bb.4:
	s_not_b32 s1, s0
	s_brev_b32 s4, exec_lo
	s_mov_b32 s6, 31
.LBB0_5:
	s_and_not1_b32 vcc_lo, exec_lo, s5
	s_cbranch_vccnz .LBB0_7
; %bb.6:
	s_mov_b32 s1, 1
	s_and_b32 s4, exec_lo, 1
	s_mov_b32 s6, 0
.LBB0_7:
	s_delay_alu instid0(SALU_CYCLE_1) | instskip(SKIP_2) | instid1(SALU_CYCLE_1)
	s_lshl_b32 s5, -1, s6
	v_mov_b32_e32 v2, -1
	s_and_b32 s4, s5, s4
	s_bcnt1_i32_b32 s5, s4
	s_delay_alu instid0(SALU_CYCLE_1)
	s_cmp_lt_u32 s5, s1
	s_cbranch_scc1 .LBB0_9
; %bb.8:
	s_and_b32 s5, s4, 0xffff
	s_lshr_b32 s4, s4, 16
	s_bcnt1_i32_b32 s6, s5
	s_delay_alu instid0(SALU_CYCLE_1) | instskip(SKIP_1) | instid1(SALU_CYCLE_1)
	s_cmp_lt_u32 s6, s1
	s_cselect_b32 s7, -1, 0
	v_cndmask_b32_e64 v2, 0, 1, s7
	s_and_b32 s7, s7, exec_lo
	s_cselect_b32 s4, s4, s5
	s_cselect_b32 s5, s6, 0
	s_and_b32 s6, s4, 0xff
	s_sub_i32 s1, s1, s5
	s_bcnt1_i32_b32 s5, s6
	s_lshr_b32 s4, s4, 8
	s_cmp_lt_i32 s5, s1
	v_lshlrev_b32_e32 v2, 4, v2
	s_cselect_b32 s7, -1, 0
	s_delay_alu instid0(SALU_CYCLE_1)
	v_cndmask_b32_e64 v3, 0, 1, s7
	s_and_b32 s7, s7, exec_lo
	s_cselect_b32 s4, s4, s6
	s_cselect_b32 s5, s5, 0
	s_and_b32 s6, s4, 15
	s_sub_i32 s1, s1, s5
	s_bcnt1_i32_b32 s5, s6
	v_lshlrev_b32_e32 v3, 3, v3
	s_lshr_b32 s4, s4, 4
	s_cmp_lt_i32 s5, s1
	s_cselect_b32 s7, -1, 0
	s_delay_alu instid0(VALU_DEP_1)
	v_or_b32_e32 v2, v3, v2
	v_cndmask_b32_e64 v3, 0, 1, s7
	s_and_b32 s7, s7, exec_lo
	s_cselect_b32 s5, s5, 0
	s_cselect_b32 s4, s4, s6
	s_sub_i32 s1, s1, s5
	s_and_b32 s5, s4, 3
	s_lshr_b32 s6, s4, 2
	s_bcnt1_i32_b32 s5, s5
	v_lshlrev_b32_e32 v3, 2, v3
	s_cmp_lt_i32 s5, s1
	s_cselect_b32 s7, -1, 0
	s_delay_alu instid0(SALU_CYCLE_1)
	v_cndmask_b32_e64 v4, 0, 1, s7
	s_and_b32 s7, s7, exec_lo
	s_cselect_b32 s4, s6, s4
	s_cselect_b32 s5, s5, 0
	s_and_b32 s4, s4, 1
	s_sub_i32 s1, s1, s5
	v_or_b32_e32 v2, v2, v3
	v_lshlrev_b32_e32 v3, 1, v4
	s_cmp_lt_i32 s4, s1
	s_cselect_b32 s1, -1, 0
	s_cmp_lt_i32 s0, -1
	s_delay_alu instid0(VALU_DEP_1) | instskip(SKIP_2) | instid1(VALU_DEP_1)
	v_or_b32_e32 v2, v2, v3
	v_cndmask_b32_e64 v3, 0, 1, s1
	s_cselect_b32 vcc_lo, -1, 0
	v_or_b32_e32 v2, v2, v3
	s_delay_alu instid0(VALU_DEP_1) | instskip(NEXT) | instid1(VALU_DEP_1)
	v_xor_b32_e32 v3, 31, v2
	v_cndmask_b32_e32 v2, v2, v3, vcc_lo
.LBB0_9:
	s_delay_alu instid0(VALU_DEP_1) | instskip(NEXT) | instid1(VALU_DEP_1)
	v_and_b32_e32 v2, 31, v2
	v_lshlrev_b32_e32 v2, 2, v2
	s_waitcnt vmcnt(0)
	ds_bpermute_b32 v1, v2, v1
	s_waitcnt lgkmcnt(0)
	global_store_b32 v0, v1, s[2:3]
.LBB0_10:
	s_nop 0
	s_sendmsg sendmsg(MSG_DEALLOC_VGPRS)
	s_endpgm
	.section	.rodata,"a",@progbits
	.p2align	6, 0x0
	.amdhsa_kernel _Z11kernel_shflPiS_ii
		.amdhsa_group_segment_fixed_size 0
		.amdhsa_private_segment_fixed_size 0
		.amdhsa_kernarg_size 280
		.amdhsa_user_sgpr_count 15
		.amdhsa_user_sgpr_dispatch_ptr 0
		.amdhsa_user_sgpr_queue_ptr 0
		.amdhsa_user_sgpr_kernarg_segment_ptr 1
		.amdhsa_user_sgpr_dispatch_id 0
		.amdhsa_user_sgpr_private_segment_size 0
		.amdhsa_wavefront_size32 1
		.amdhsa_uses_dynamic_stack 0
		.amdhsa_enable_private_segment 0
		.amdhsa_system_sgpr_workgroup_id_x 1
		.amdhsa_system_sgpr_workgroup_id_y 0
		.amdhsa_system_sgpr_workgroup_id_z 0
		.amdhsa_system_sgpr_workgroup_info 0
		.amdhsa_system_vgpr_workitem_id 0
		.amdhsa_next_free_vgpr 5
		.amdhsa_next_free_sgpr 16
		.amdhsa_reserve_vcc 1
		.amdhsa_float_round_mode_32 0
		.amdhsa_float_round_mode_16_64 0
		.amdhsa_float_denorm_mode_32 3
		.amdhsa_float_denorm_mode_16_64 3
		.amdhsa_dx10_clamp 1
		.amdhsa_ieee_mode 1
		.amdhsa_fp16_overflow 0
		.amdhsa_workgroup_processor_mode 1
		.amdhsa_memory_ordered 1
		.amdhsa_forward_progress 0
		.amdhsa_shared_vgpr_count 0
		.amdhsa_exception_fp_ieee_invalid_op 0
		.amdhsa_exception_fp_denorm_src 0
		.amdhsa_exception_fp_ieee_div_zero 0
		.amdhsa_exception_fp_ieee_overflow 0
		.amdhsa_exception_fp_ieee_underflow 0
		.amdhsa_exception_fp_ieee_inexact 0
		.amdhsa_exception_int_div_zero 0
	.end_amdhsa_kernel
	.text
.Lfunc_end0:
	.size	_Z11kernel_shflPiS_ii, .Lfunc_end0-_Z11kernel_shflPiS_ii
                                        ; -- End function
	.section	.AMDGPU.csdata,"",@progbits
; Kernel info:
; codeLenInByte = 812
; NumSgprs: 18
; NumVgprs: 5
; ScratchSize: 0
; MemoryBound: 0
; FloatMode: 240
; IeeeMode: 1
; LDSByteSize: 0 bytes/workgroup (compile time only)
; SGPRBlocks: 2
; VGPRBlocks: 0
; NumSGPRsForWavesPerEU: 18
; NumVGPRsForWavesPerEU: 5
; Occupancy: 16
; WaveLimiterHint : 0
; COMPUTE_PGM_RSRC2:SCRATCH_EN: 0
; COMPUTE_PGM_RSRC2:USER_SGPR: 15
; COMPUTE_PGM_RSRC2:TRAP_HANDLER: 0
; COMPUTE_PGM_RSRC2:TGID_X_EN: 1
; COMPUTE_PGM_RSRC2:TGID_Y_EN: 0
; COMPUTE_PGM_RSRC2:TGID_Z_EN: 0
; COMPUTE_PGM_RSRC2:TIDIG_COMP_CNT: 0
	.text
	.protected	_Z22kernel_shfl_any_to_anyPiS_S_i ; -- Begin function _Z22kernel_shfl_any_to_anyPiS_S_i
	.globl	_Z22kernel_shfl_any_to_anyPiS_S_i
	.p2align	8
	.type	_Z22kernel_shfl_any_to_anyPiS_S_i,@function
_Z22kernel_shfl_any_to_anyPiS_S_i:      ; @_Z22kernel_shfl_any_to_anyPiS_S_i
; %bb.0:
	s_clause 0x1
	s_load_b32 s2, s[0:1], 0x18
	s_load_b32 s3, s[0:1], 0x2c
	s_waitcnt lgkmcnt(0)
	s_abs_i32 s2, s2
	s_and_b32 s3, s3, 0xffff
	v_cvt_f32_u32_e32 v1, s2
	s_sub_i32 s4, 0, s2
	s_delay_alu instid0(VALU_DEP_1) | instskip(SKIP_2) | instid1(VALU_DEP_1)
	v_rcp_iflag_f32_e32 v1, v1
	s_waitcnt_depctr 0xfff
	v_mul_f32_e32 v1, 0x4f7ffffe, v1
	v_cvt_u32_f32_e32 v3, v1
	v_mad_u64_u32 v[1:2], null, s15, s3, v[0:1]
	s_delay_alu instid0(VALU_DEP_2) | instskip(NEXT) | instid1(VALU_DEP_2)
	v_mul_lo_u32 v4, s4, v3
	v_sub_nc_u32_e32 v2, 0, v1
	s_delay_alu instid0(VALU_DEP_2) | instskip(NEXT) | instid1(VALU_DEP_2)
	v_mul_hi_u32 v0, v3, v4
	v_max_i32_e32 v2, v1, v2
	v_ashrrev_i32_e32 v1, 31, v1
	s_delay_alu instid0(VALU_DEP_3) | instskip(NEXT) | instid1(VALU_DEP_1)
	v_add_nc_u32_e32 v0, v3, v0
	v_mul_hi_u32 v0, v2, v0
	s_delay_alu instid0(VALU_DEP_1) | instskip(NEXT) | instid1(VALU_DEP_1)
	v_mul_lo_u32 v0, v0, s2
	v_sub_nc_u32_e32 v0, v2, v0
	s_delay_alu instid0(VALU_DEP_1) | instskip(SKIP_1) | instid1(VALU_DEP_2)
	v_subrev_nc_u32_e32 v2, s2, v0
	v_cmp_le_u32_e32 vcc_lo, s2, v0
	v_cndmask_b32_e32 v0, v0, v2, vcc_lo
	s_delay_alu instid0(VALU_DEP_1) | instskip(SKIP_2) | instid1(VALU_DEP_2)
	v_subrev_nc_u32_e32 v2, s2, v0
	v_cmp_le_u32_e32 vcc_lo, s2, v0
	s_mov_b32 s2, exec_lo
	v_cndmask_b32_e32 v0, v0, v2, vcc_lo
	s_delay_alu instid0(VALU_DEP_1) | instskip(NEXT) | instid1(VALU_DEP_1)
	v_xor_b32_e32 v0, v0, v1
	v_sub_nc_u32_e32 v0, v0, v1
	s_delay_alu instid0(VALU_DEP_1)
	v_cmpx_eq_u32_e32 0, v0
	s_cbranch_execz .LBB1_12
; %bb.1:
	s_clause 0x1
	s_load_b128 s[8:11], s[0:1], 0x0
	s_load_b64 s[2:3], s[0:1], 0x10
	s_mov_b32 s4, exec_lo
	s_delay_alu instid0(SALU_CYCLE_1) | instskip(SKIP_4) | instid1(VALU_DEP_1)
	s_bcnt1_i32_b32 s0, s4
	v_mbcnt_lo_u32_b32 v0, s4, 0
	v_cvt_f32_ubyte0_e32 v3, s0
	s_sub_i32 s1, 0, s0
	s_cmp_eq_u32 s4, -1
	v_rcp_iflag_f32_e32 v3, v3
	s_waitcnt_depctr 0xfff
	v_dual_mul_f32 v3, 0x4f7ffffe, v3 :: v_dual_lshlrev_b32 v0, 2, v0
	s_waitcnt lgkmcnt(0)
	s_clause 0x1
	global_load_b32 v2, v0, s[10:11]
	global_load_b32 v1, v0, s[8:9]
	v_cvt_u32_f32_e32 v3, v3
	s_delay_alu instid0(VALU_DEP_1) | instskip(NEXT) | instid1(VALU_DEP_1)
	v_mul_lo_u32 v4, s1, v3
	v_mul_hi_u32 v4, v3, v4
	s_delay_alu instid0(VALU_DEP_1) | instskip(SKIP_2) | instid1(VALU_DEP_1)
	v_add_nc_u32_e32 v3, v3, v4
	s_waitcnt vmcnt(1)
	v_sub_nc_u32_e32 v5, 0, v2
	v_max_i32_e32 v5, v2, v5
	v_ashrrev_i32_e32 v2, 31, v2
	s_delay_alu instid0(VALU_DEP_2) | instskip(NEXT) | instid1(VALU_DEP_1)
	v_mul_hi_u32 v3, v5, v3
	v_mul_lo_u32 v3, v3, s0
	s_delay_alu instid0(VALU_DEP_1) | instskip(NEXT) | instid1(VALU_DEP_1)
	v_sub_nc_u32_e32 v3, v5, v3
	v_subrev_nc_u32_e32 v4, s0, v3
	v_cmp_le_u32_e32 vcc_lo, s0, v3
	s_delay_alu instid0(VALU_DEP_2) | instskip(NEXT) | instid1(VALU_DEP_1)
	v_cndmask_b32_e32 v3, v3, v4, vcc_lo
	v_subrev_nc_u32_e32 v4, s0, v3
	v_cmp_le_u32_e32 vcc_lo, s0, v3
	s_delay_alu instid0(VALU_DEP_2) | instskip(NEXT) | instid1(VALU_DEP_1)
	v_cndmask_b32_e32 v3, v3, v4, vcc_lo
	v_xor_b32_e32 v3, v3, v2
	s_delay_alu instid0(VALU_DEP_1)
	v_sub_nc_u32_e32 v2, v3, v2
	s_cbranch_scc1 .LBB1_11
; %bb.2:
	s_delay_alu instid0(VALU_DEP_1) | instskip(NEXT) | instid1(VALU_DEP_1)
	v_add_co_u32 v3, s0, v2, 1
	s_xor_b32 s0, s0, -1
                                        ; implicit-def: $vgpr4
                                        ; implicit-def: $vgpr5
	s_delay_alu instid0(SALU_CYCLE_1) | instskip(NEXT) | instid1(SALU_CYCLE_1)
	s_and_saveexec_b32 s1, s0
	s_xor_b32 s0, exec_lo, s1
	s_cbranch_execz .LBB1_6
; %bb.3:
	v_dual_mov_b32 v4, 0 :: v_dual_mov_b32 v5, s4
	s_mov_b32 s1, exec_lo
	v_cmpx_gt_i32_e32 -1, v2
; %bb.4:
	s_brev_b32 s5, s4
	v_not_b32_e32 v3, v2
	v_dual_mov_b32 v4, 31 :: v_dual_mov_b32 v5, s5
; %bb.5:
	s_or_b32 exec_lo, exec_lo, s1
.LBB1_6:
	s_and_not1_saveexec_b32 s0, s0
; %bb.7:
	s_and_b32 s1, s4, 1
	v_dual_mov_b32 v3, 1 :: v_dual_mov_b32 v4, 0
	v_mov_b32_e32 v5, s1
; %bb.8:
	s_or_b32 exec_lo, exec_lo, s0
	s_delay_alu instid0(VALU_DEP_2) | instskip(NEXT) | instid1(VALU_DEP_1)
	v_lshlrev_b32_e64 v4, v4, -1
	v_and_b32_e32 v4, v4, v5
	s_delay_alu instid0(VALU_DEP_1) | instskip(NEXT) | instid1(VALU_DEP_1)
	v_bcnt_u32_b32 v5, v4, 0
	v_cmp_ge_u32_e32 vcc_lo, v5, v3
	v_mov_b32_e32 v5, -1
	s_and_saveexec_b32 s4, vcc_lo
	s_cbranch_execz .LBB1_10
; %bb.9:
	v_and_b32_e32 v5, 0xffff, v4
	v_lshrrev_b32_e32 v4, 16, v4
	s_delay_alu instid0(VALU_DEP_2) | instskip(NEXT) | instid1(VALU_DEP_1)
	v_bcnt_u32_b32 v6, v5, 0
	v_cmp_lt_u32_e32 vcc_lo, v6, v3
	s_delay_alu instid0(VALU_DEP_3) | instskip(NEXT) | instid1(VALU_DEP_1)
	v_dual_cndmask_b32 v4, v5, v4 :: v_dual_cndmask_b32 v5, 0, v6
	v_and_b32_e32 v6, 0xff, v4
	s_delay_alu instid0(VALU_DEP_2) | instskip(SKIP_1) | instid1(VALU_DEP_3)
	v_sub_nc_u32_e32 v3, v3, v5
	v_lshrrev_b32_e32 v4, 8, v4
	v_bcnt_u32_b32 v5, v6, 0
	s_delay_alu instid0(VALU_DEP_1) | instskip(NEXT) | instid1(VALU_DEP_1)
	v_cmp_lt_i32_e64 s0, v5, v3
	v_cndmask_b32_e64 v4, v6, v4, s0
	v_cndmask_b32_e64 v5, 0, v5, s0
	;; [unrolled: 1-line block ×3, first 2 shown]
	s_delay_alu instid0(VALU_DEP_3) | instskip(NEXT) | instid1(VALU_DEP_3)
	v_and_b32_e32 v6, 15, v4
	v_sub_nc_u32_e32 v3, v3, v5
	v_lshrrev_b32_e32 v4, 4, v4
	s_delay_alu instid0(VALU_DEP_3) | instskip(NEXT) | instid1(VALU_DEP_1)
	v_bcnt_u32_b32 v5, v6, 0
	v_cmp_lt_i32_e64 s1, v5, v3
	s_delay_alu instid0(VALU_DEP_1) | instskip(SKIP_2) | instid1(VALU_DEP_3)
	v_cndmask_b32_e64 v4, v6, v4, s1
	v_cndmask_b32_e64 v5, 0, v5, s1
	;; [unrolled: 1-line block ×3, first 2 shown]
	v_and_b32_e32 v6, 3, v4
	s_delay_alu instid0(VALU_DEP_3) | instskip(SKIP_1) | instid1(VALU_DEP_3)
	v_sub_nc_u32_e32 v3, v3, v5
	v_lshrrev_b32_e32 v7, 2, v4
	v_bcnt_u32_b32 v5, v6, 0
	v_cndmask_b32_e64 v6, 0, 1, vcc_lo
	s_delay_alu instid0(VALU_DEP_2) | instskip(NEXT) | instid1(VALU_DEP_4)
	v_cmp_lt_i32_e32 vcc_lo, v5, v3
	v_dual_cndmask_b32 v5, 0, v5 :: v_dual_cndmask_b32 v4, v4, v7
	v_lshlrev_b32_e32 v7, 3, v8
	v_lshlrev_b32_e32 v8, 2, v9
	v_cndmask_b32_e64 v9, 0, 1, vcc_lo
	s_delay_alu instid0(VALU_DEP_4) | instskip(SKIP_1) | instid1(VALU_DEP_1)
	v_sub_nc_u32_e32 v3, v3, v5
	v_and_b32_e32 v4, 1, v4
	v_cmp_lt_i32_e32 vcc_lo, v4, v3
	v_cndmask_b32_e64 v3, 0, 1, vcc_lo
	v_cmp_gt_i32_e32 vcc_lo, -1, v2
	v_lshlrev_b32_e32 v6, 4, v6
	s_delay_alu instid0(VALU_DEP_1) | instskip(SKIP_1) | instid1(VALU_DEP_1)
	v_or3_b32 v5, v7, v6, v8
	v_lshlrev_b32_e32 v6, 1, v9
	v_or3_b32 v3, v5, v6, v3
	s_delay_alu instid0(VALU_DEP_1) | instskip(NEXT) | instid1(VALU_DEP_1)
	v_xor_b32_e32 v4, 31, v3
	v_cndmask_b32_e32 v5, v3, v4, vcc_lo
.LBB1_10:
	s_or_b32 exec_lo, exec_lo, s4
	s_delay_alu instid0(VALU_DEP_1)
	v_mov_b32_e32 v2, v5
.LBB1_11:
	s_delay_alu instid0(VALU_DEP_1) | instskip(NEXT) | instid1(VALU_DEP_1)
	v_and_b32_e32 v2, 31, v2
	v_lshlrev_b32_e32 v2, 2, v2
	s_waitcnt vmcnt(0)
	ds_bpermute_b32 v1, v2, v1
	s_waitcnt lgkmcnt(0)
	global_store_b32 v0, v1, s[2:3]
.LBB1_12:
	s_nop 0
	s_sendmsg sendmsg(MSG_DEALLOC_VGPRS)
	s_endpgm
	.section	.rodata,"a",@progbits
	.p2align	6, 0x0
	.amdhsa_kernel _Z22kernel_shfl_any_to_anyPiS_S_i
		.amdhsa_group_segment_fixed_size 0
		.amdhsa_private_segment_fixed_size 0
		.amdhsa_kernarg_size 288
		.amdhsa_user_sgpr_count 15
		.amdhsa_user_sgpr_dispatch_ptr 0
		.amdhsa_user_sgpr_queue_ptr 0
		.amdhsa_user_sgpr_kernarg_segment_ptr 1
		.amdhsa_user_sgpr_dispatch_id 0
		.amdhsa_user_sgpr_private_segment_size 0
		.amdhsa_wavefront_size32 1
		.amdhsa_uses_dynamic_stack 0
		.amdhsa_enable_private_segment 0
		.amdhsa_system_sgpr_workgroup_id_x 1
		.amdhsa_system_sgpr_workgroup_id_y 0
		.amdhsa_system_sgpr_workgroup_id_z 0
		.amdhsa_system_sgpr_workgroup_info 0
		.amdhsa_system_vgpr_workitem_id 0
		.amdhsa_next_free_vgpr 10
		.amdhsa_next_free_sgpr 16
		.amdhsa_reserve_vcc 1
		.amdhsa_float_round_mode_32 0
		.amdhsa_float_round_mode_16_64 0
		.amdhsa_float_denorm_mode_32 3
		.amdhsa_float_denorm_mode_16_64 3
		.amdhsa_dx10_clamp 1
		.amdhsa_ieee_mode 1
		.amdhsa_fp16_overflow 0
		.amdhsa_workgroup_processor_mode 1
		.amdhsa_memory_ordered 1
		.amdhsa_forward_progress 0
		.amdhsa_shared_vgpr_count 0
		.amdhsa_exception_fp_ieee_invalid_op 0
		.amdhsa_exception_fp_denorm_src 0
		.amdhsa_exception_fp_ieee_div_zero 0
		.amdhsa_exception_fp_ieee_overflow 0
		.amdhsa_exception_fp_ieee_underflow 0
		.amdhsa_exception_fp_ieee_inexact 0
		.amdhsa_exception_int_div_zero 0
	.end_amdhsa_kernel
	.text
.Lfunc_end1:
	.size	_Z22kernel_shfl_any_to_anyPiS_S_i, .Lfunc_end1-_Z22kernel_shfl_any_to_anyPiS_S_i
                                        ; -- End function
	.section	.AMDGPU.csdata,"",@progbits
; Kernel info:
; codeLenInByte = 920
; NumSgprs: 18
; NumVgprs: 10
; ScratchSize: 0
; MemoryBound: 0
; FloatMode: 240
; IeeeMode: 1
; LDSByteSize: 0 bytes/workgroup (compile time only)
; SGPRBlocks: 2
; VGPRBlocks: 1
; NumSGPRsForWavesPerEU: 18
; NumVGPRsForWavesPerEU: 10
; Occupancy: 16
; WaveLimiterHint : 0
; COMPUTE_PGM_RSRC2:SCRATCH_EN: 0
; COMPUTE_PGM_RSRC2:USER_SGPR: 15
; COMPUTE_PGM_RSRC2:TRAP_HANDLER: 0
; COMPUTE_PGM_RSRC2:TGID_X_EN: 1
; COMPUTE_PGM_RSRC2:TGID_Y_EN: 0
; COMPUTE_PGM_RSRC2:TGID_Z_EN: 0
; COMPUTE_PGM_RSRC2:TIDIG_COMP_CNT: 0
	.text
	.protected	_Z10filter_arrPiS_PKii  ; -- Begin function _Z10filter_arrPiS_PKii
	.globl	_Z10filter_arrPiS_PKii
	.p2align	8
	.type	_Z10filter_arrPiS_PKii,@function
_Z10filter_arrPiS_PKii:                 ; @_Z10filter_arrPiS_PKii
; %bb.0:
	s_clause 0x1
	s_load_b32 s4, s[0:1], 0x2c
	s_load_b32 s8, s[0:1], 0x18
	s_add_u32 s2, s0, 32
	s_addc_u32 s3, s1, 0
	s_waitcnt lgkmcnt(0)
	s_and_b32 s9, s4, 0xffff
	s_mov_b32 s4, exec_lo
	v_mad_u64_u32 v[1:2], null, s15, s9, v[0:1]
	s_delay_alu instid0(VALU_DEP_1)
	v_cmpx_gt_i32_e64 s8, v1
	s_cbranch_execz .LBB2_17
; %bb.1:
	s_load_b32 s2, s[2:3], 0x0
	s_clause 0x1
	s_load_b128 s[4:7], s[0:1], 0x0
	s_load_b64 s[0:1], s[0:1], 0x10
	v_mov_b32_e32 v0, 0
	s_mov_b32 s3, 0
	s_waitcnt lgkmcnt(0)
	s_mul_i32 s2, s2, s9
	s_branch .LBB2_4
.LBB2_2:                                ;   in Loop: Header=BB2_4 Depth=1
	s_delay_alu instid0(VALU_DEP_1) | instskip(SKIP_3) | instid1(VALU_DEP_1)
	v_lshlrev_b32_e32 v5, 2, v5
	ds_bpermute_b32 v4, v5, v4
	s_waitcnt lgkmcnt(0)
	v_add_nc_u32_e32 v3, v4, v3
	v_ashrrev_i32_e32 v4, 31, v3
	s_delay_alu instid0(VALU_DEP_1) | instskip(NEXT) | instid1(VALU_DEP_1)
	v_lshlrev_b64 v[3:4], 2, v[3:4]
	v_add_co_u32 v3, vcc_lo, s4, v3
	s_delay_alu instid0(VALU_DEP_2)
	v_add_co_ci_u32_e32 v4, vcc_lo, s5, v4, vcc_lo
	global_store_b32 v[3:4], v2, off
.LBB2_3:                                ;   in Loop: Header=BB2_4 Depth=1
	s_or_b32 exec_lo, exec_lo, s9
	v_add_nc_u32_e32 v1, s2, v1
	s_delay_alu instid0(VALU_DEP_1) | instskip(SKIP_1) | instid1(SALU_CYCLE_1)
	v_cmp_le_i32_e32 vcc_lo, s8, v1
	s_or_b32 s3, vcc_lo, s3
	s_and_not1_b32 exec_lo, exec_lo, s3
	s_cbranch_execz .LBB2_17
.LBB2_4:                                ; =>This Inner Loop Header: Depth=1
	v_ashrrev_i32_e32 v2, 31, v1
	s_mov_b32 s9, exec_lo
	s_delay_alu instid0(VALU_DEP_1) | instskip(NEXT) | instid1(VALU_DEP_1)
	v_lshlrev_b64 v[2:3], 2, v[1:2]
	v_add_co_u32 v2, vcc_lo, s0, v2
	s_delay_alu instid0(VALU_DEP_2)
	v_add_co_ci_u32_e32 v3, vcc_lo, s1, v3, vcc_lo
	global_load_b32 v2, v[2:3], off
	s_waitcnt vmcnt(0)
	v_cmpx_lt_i32_e32 0, v2
	s_cbranch_execz .LBB2_3
; %bb.5:                                ;   in Loop: Header=BB2_4 Depth=1
	s_mov_b32 s10, exec_lo
	v_mov_b32_e32 v4, 0
	v_mbcnt_lo_u32_b32 v3, s10, 0
	s_mov_b32 s11, exec_lo
	s_delay_alu instid0(VALU_DEP_1)
	v_cmpx_eq_u32_e32 0, v3
	s_cbranch_execz .LBB2_9
; %bb.6:                                ;   in Loop: Header=BB2_4 Depth=1
	s_mov_b32 s14, exec_lo
	s_bcnt1_i32_b32 s12, s10
	v_mbcnt_lo_u32_b32 v4, s14, 0
	s_mov_b32 s13, exec_lo
                                        ; implicit-def: $vgpr5
	s_delay_alu instid0(VALU_DEP_1)
	v_cmpx_eq_u32_e32 0, v4
	s_cbranch_execz .LBB2_8
; %bb.7:                                ;   in Loop: Header=BB2_4 Depth=1
	s_bcnt1_i32_b32 s14, s14
	s_delay_alu instid0(SALU_CYCLE_1) | instskip(NEXT) | instid1(SALU_CYCLE_1)
	s_mul_i32 s14, s12, s14
	v_mov_b32_e32 v5, s14
	global_atomic_add_u32 v5, v0, v5, s[6:7] glc
.LBB2_8:                                ;   in Loop: Header=BB2_4 Depth=1
	s_or_b32 exec_lo, exec_lo, s13
	s_waitcnt vmcnt(0)
	v_readfirstlane_b32 s13, v5
	s_delay_alu instid0(VALU_DEP_1)
	v_mad_u32_u24 v4, s12, v4, s13
.LBB2_9:                                ;   in Loop: Header=BB2_4 Depth=1
	s_or_b32 exec_lo, exec_lo, s11
	s_cmp_lt_i32 s10, 0
	s_cbranch_scc1 .LBB2_13
; %bb.10:                               ;   in Loop: Header=BB2_4 Depth=1
	s_cmp_eq_u32 s10, 0
	s_mov_b32 s11, -1
                                        ; implicit-def: $sgpr12
	s_cbranch_scc0 .LBB2_12
; %bb.11:                               ;   in Loop: Header=BB2_4 Depth=1
	s_mov_b32 s11, 0
	s_mov_b32 s12, 31
.LBB2_12:                               ;   in Loop: Header=BB2_4 Depth=1
	s_branch .LBB2_15
.LBB2_13:                               ;   in Loop: Header=BB2_4 Depth=1
	s_mov_b32 s11, 0
                                        ; implicit-def: $sgpr12
	s_cbranch_execz .LBB2_15
; %bb.14:                               ;   in Loop: Header=BB2_4 Depth=1
	s_cmp_lg_u32 s10, -1
	s_mov_b32 s12, 0
	s_cselect_b32 s11, -1, 0
.LBB2_15:                               ;   in Loop: Header=BB2_4 Depth=1
	v_mov_b32_e32 v5, s12
	s_and_not1_b32 vcc_lo, exec_lo, s11
	s_cbranch_vccnz .LBB2_2
; %bb.16:                               ;   in Loop: Header=BB2_4 Depth=1
	s_and_b32 s11, s10, 0xffff
	s_lshr_b32 s10, s10, 16
	s_cmp_eq_u32 s11, 0
	s_cselect_b32 s12, -1, 0
	s_delay_alu instid0(SALU_CYCLE_1) | instskip(SKIP_2) | instid1(SALU_CYCLE_1)
	v_cndmask_b32_e64 v5, 0, 1, s12
	s_and_b32 s12, s12, exec_lo
	s_cselect_b32 s10, s10, s11
	s_and_b32 s11, s10, 0xff
	s_lshr_b32 s10, s10, 8
	s_cmp_eq_u32 s11, 0
	v_lshlrev_b32_e32 v5, 4, v5
	s_cselect_b32 s12, -1, 0
	s_delay_alu instid0(SALU_CYCLE_1) | instskip(SKIP_2) | instid1(SALU_CYCLE_1)
	v_cndmask_b32_e64 v6, 0, 1, s12
	s_and_b32 s12, s12, exec_lo
	s_cselect_b32 s10, s10, s11
	s_and_b32 s11, s10, 15
	s_lshr_b32 s10, s10, 4
	s_cmp_eq_u32 s11, 0
	v_lshlrev_b32_e32 v6, 3, v6
	s_cselect_b32 s12, -1, 0
	s_delay_alu instid0(SALU_CYCLE_1)
	v_cndmask_b32_e64 v7, 0, 1, s12
	s_and_b32 s12, s12, exec_lo
	s_cselect_b32 s10, s10, s11
	v_or_b32_e32 v5, v6, v5
	s_and_b32 s11, s10, 3
	s_lshr_b32 s12, s10, 2
	s_cmp_eq_u32 s11, 0
	v_lshlrev_b32_e32 v6, 2, v7
	s_cselect_b32 s11, -1, 0
	s_delay_alu instid0(SALU_CYCLE_1) | instskip(SKIP_1) | instid1(VALU_DEP_2)
	v_cndmask_b32_e64 v7, 0, 1, s11
	s_and_b32 s11, s11, exec_lo
	v_or_b32_e32 v5, v5, v6
	s_cselect_b32 s10, s12, s10
	s_delay_alu instid0(VALU_DEP_2) | instskip(SKIP_1) | instid1(VALU_DEP_1)
	v_lshlrev_b32_e32 v6, 1, v7
	s_and_b32 s10, s10, 1
	v_or_b32_e32 v5, v5, v6
	s_delay_alu instid0(VALU_DEP_1) | instskip(NEXT) | instid1(VALU_DEP_1)
	v_or_b32_e32 v5, s10, v5
	v_xor_b32_e32 v5, 1, v5
	s_branch .LBB2_2
.LBB2_17:
	s_nop 0
	s_sendmsg sendmsg(MSG_DEALLOC_VGPRS)
	s_endpgm
	.section	.rodata,"a",@progbits
	.p2align	6, 0x0
	.amdhsa_kernel _Z10filter_arrPiS_PKii
		.amdhsa_group_segment_fixed_size 0
		.amdhsa_private_segment_fixed_size 0
		.amdhsa_kernarg_size 288
		.amdhsa_user_sgpr_count 15
		.amdhsa_user_sgpr_dispatch_ptr 0
		.amdhsa_user_sgpr_queue_ptr 0
		.amdhsa_user_sgpr_kernarg_segment_ptr 1
		.amdhsa_user_sgpr_dispatch_id 0
		.amdhsa_user_sgpr_private_segment_size 0
		.amdhsa_wavefront_size32 1
		.amdhsa_uses_dynamic_stack 0
		.amdhsa_enable_private_segment 0
		.amdhsa_system_sgpr_workgroup_id_x 1
		.amdhsa_system_sgpr_workgroup_id_y 0
		.amdhsa_system_sgpr_workgroup_id_z 0
		.amdhsa_system_sgpr_workgroup_info 0
		.amdhsa_system_vgpr_workitem_id 0
		.amdhsa_next_free_vgpr 8
		.amdhsa_next_free_sgpr 16
		.amdhsa_reserve_vcc 1
		.amdhsa_float_round_mode_32 0
		.amdhsa_float_round_mode_16_64 0
		.amdhsa_float_denorm_mode_32 3
		.amdhsa_float_denorm_mode_16_64 3
		.amdhsa_dx10_clamp 1
		.amdhsa_ieee_mode 1
		.amdhsa_fp16_overflow 0
		.amdhsa_workgroup_processor_mode 1
		.amdhsa_memory_ordered 1
		.amdhsa_forward_progress 0
		.amdhsa_shared_vgpr_count 0
		.amdhsa_exception_fp_ieee_invalid_op 0
		.amdhsa_exception_fp_denorm_src 0
		.amdhsa_exception_fp_ieee_div_zero 0
		.amdhsa_exception_fp_ieee_overflow 0
		.amdhsa_exception_fp_ieee_underflow 0
		.amdhsa_exception_fp_ieee_inexact 0
		.amdhsa_exception_int_div_zero 0
	.end_amdhsa_kernel
	.text
.Lfunc_end2:
	.size	_Z10filter_arrPiS_PKii, .Lfunc_end2-_Z10filter_arrPiS_PKii
                                        ; -- End function
	.section	.AMDGPU.csdata,"",@progbits
; Kernel info:
; codeLenInByte = 660
; NumSgprs: 18
; NumVgprs: 8
; ScratchSize: 0
; MemoryBound: 0
; FloatMode: 240
; IeeeMode: 1
; LDSByteSize: 0 bytes/workgroup (compile time only)
; SGPRBlocks: 2
; VGPRBlocks: 0
; NumSGPRsForWavesPerEU: 18
; NumVGPRsForWavesPerEU: 8
; Occupancy: 16
; WaveLimiterHint : 0
; COMPUTE_PGM_RSRC2:SCRATCH_EN: 0
; COMPUTE_PGM_RSRC2:USER_SGPR: 15
; COMPUTE_PGM_RSRC2:TRAP_HANDLER: 0
; COMPUTE_PGM_RSRC2:TGID_X_EN: 1
; COMPUTE_PGM_RSRC2:TGID_Y_EN: 0
; COMPUTE_PGM_RSRC2:TGID_Z_EN: 0
; COMPUTE_PGM_RSRC2:TIDIG_COMP_CNT: 0
	.text
	.protected	_Z35kernel_cg_coalesced_group_partitionjPibS_i ; -- Begin function _Z35kernel_cg_coalesced_group_partitionjPibS_i
	.globl	_Z35kernel_cg_coalesced_group_partitionjPibS_i
	.p2align	8
	.type	_Z35kernel_cg_coalesced_group_partitionjPibS_i,@function
_Z35kernel_cg_coalesced_group_partitionjPibS_i: ; @_Z35kernel_cg_coalesced_group_partitionjPibS_i
; %bb.0:
	s_clause 0x1
	s_load_b32 s2, s[0:1], 0x20
	s_load_b32 s3, s[0:1], 0x34
	s_add_u32 s6, s0, 40
	s_addc_u32 s7, s1, 0
	s_waitcnt lgkmcnt(0)
	s_abs_i32 s2, s2
	s_and_b32 s3, s3, 0xffff
	v_cvt_f32_u32_e32 v1, s2
	s_sub_i32 s4, 0, s2
	s_delay_alu instid0(VALU_DEP_1) | instskip(SKIP_2) | instid1(VALU_DEP_1)
	v_rcp_iflag_f32_e32 v1, v1
	s_waitcnt_depctr 0xfff
	v_mul_f32_e32 v1, 0x4f7ffffe, v1
	v_cvt_u32_f32_e32 v3, v1
	v_mad_u64_u32 v[1:2], null, s15, s3, v[0:1]
	s_delay_alu instid0(VALU_DEP_2) | instskip(NEXT) | instid1(VALU_DEP_2)
	v_mul_lo_u32 v4, s4, v3
	v_sub_nc_u32_e32 v2, 0, v1
	s_delay_alu instid0(VALU_DEP_2) | instskip(NEXT) | instid1(VALU_DEP_2)
	v_mul_hi_u32 v0, v3, v4
	v_max_i32_e32 v2, v1, v2
	v_ashrrev_i32_e32 v1, 31, v1
	s_delay_alu instid0(VALU_DEP_3) | instskip(NEXT) | instid1(VALU_DEP_1)
	v_add_nc_u32_e32 v0, v3, v0
	v_mul_hi_u32 v0, v2, v0
	s_delay_alu instid0(VALU_DEP_1) | instskip(NEXT) | instid1(VALU_DEP_1)
	v_mul_lo_u32 v0, v0, s2
	v_sub_nc_u32_e32 v0, v2, v0
	s_delay_alu instid0(VALU_DEP_1) | instskip(SKIP_1) | instid1(VALU_DEP_2)
	v_subrev_nc_u32_e32 v2, s2, v0
	v_cmp_le_u32_e32 vcc_lo, s2, v0
	v_cndmask_b32_e32 v0, v0, v2, vcc_lo
	s_delay_alu instid0(VALU_DEP_1) | instskip(SKIP_2) | instid1(VALU_DEP_2)
	v_subrev_nc_u32_e32 v2, s2, v0
	v_cmp_le_u32_e32 vcc_lo, s2, v0
	s_mov_b32 s2, exec_lo
	v_cndmask_b32_e32 v0, v0, v2, vcc_lo
	s_delay_alu instid0(VALU_DEP_1) | instskip(NEXT) | instid1(VALU_DEP_1)
	v_xor_b32_e32 v0, v0, v1
	v_sub_nc_u32_e32 v0, v0, v1
	s_delay_alu instid0(VALU_DEP_1)
	v_cmpx_eq_u32_e32 0, v0
	s_cbranch_execz .LBB3_688
; %bb.1:
	s_clause 0x1
	s_load_b32 s4, s[0:1], 0x10
	s_load_b64 s[2:3], s[0:1], 0x18
	s_mov_b32 s24, exec_lo
	s_delay_alu instid0(SALU_CYCLE_1) | instskip(SKIP_1) | instid1(VALU_DEP_1)
	v_mbcnt_lo_u32_b32 v32, s24, 0
	s_bcnt1_i32_b32 s23, s24
	v_mov_b32_e32 v34, v32
	s_waitcnt lgkmcnt(0)
	s_and_b32 s8, 1, s4
	s_cmp_lg_u32 0, -1
	s_mov_b64 s[4:5], src_shared_base
	s_cselect_b32 s4, 0, 0
	s_cselect_b32 s5, s5, 0
	s_cmp_eq_u32 s8, 1
	s_cselect_b32 s21, s3, s5
	s_cselect_b32 s22, s2, s4
	s_cmp_lt_u32 s23, 2
	s_cbranch_scc1 .LBB3_7
; %bb.2:
	v_lshlrev_b32_e32 v0, 2, v32
	v_mov_b32_e32 v34, v32
	s_mov_b32 s3, 0
	s_mov_b32 s4, s23
	s_delay_alu instid0(VALU_DEP_2) | instskip(NEXT) | instid1(VALU_DEP_1)
	v_add_co_u32 v0, s2, s22, v0
	v_add_co_ci_u32_e64 v1, null, s21, 0, s2
	.p2align	6
.LBB3_3:                                ; =>This Inner Loop Header: Depth=1
	s_lshr_b32 s2, s4, 1
	s_mov_b32 s5, exec_lo
	flat_store_b32 v[0:1], v34
	s_waitcnt lgkmcnt(0)
	s_waitcnt_vscnt null, 0x0
	buffer_gl1_inv
	buffer_gl0_inv
	v_cmpx_gt_i32_e64 s2, v32
	s_cbranch_execz .LBB3_5
; %bb.4:                                ;   in Loop: Header=BB3_3 Depth=1
	s_lshl_b64 s[8:9], s[2:3], 2
	s_delay_alu instid0(SALU_CYCLE_1)
	v_add_co_u32 v2, vcc_lo, v0, s8
	v_add_co_ci_u32_e32 v3, vcc_lo, s9, v1, vcc_lo
	flat_load_b32 v2, v[2:3]
	s_waitcnt vmcnt(0) lgkmcnt(0)
	v_add_nc_u32_e32 v34, v2, v34
.LBB3_5:                                ;   in Loop: Header=BB3_3 Depth=1
	s_or_b32 exec_lo, exec_lo, s5
	s_cmp_gt_u32 s4, 3
	buffer_gl1_inv
	buffer_gl0_inv
	s_cbranch_scc0 .LBB3_7
; %bb.6:                                ;   in Loop: Header=BB3_3 Depth=1
	s_mov_b32 s4, s2
	s_branch .LBB3_3
.LBB3_7:
	s_load_b32 s20, s[0:1], 0x0
	v_cmp_eq_u32_e64 s2, 0, v32
	s_delay_alu instid0(VALU_DEP_1)
	s_and_saveexec_b32 s25, s2
	s_cbranch_execz .LBB3_377
; %bb.8:
	s_load_b64 s[8:9], s[6:7], 0x50
	v_mbcnt_lo_u32_b32 v33, -1, 0
	v_mov_b32_e32 v6, 0
	v_mov_b32_e32 v7, 0
	s_delay_alu instid0(VALU_DEP_3) | instskip(NEXT) | instid1(VALU_DEP_1)
	v_readfirstlane_b32 s3, v33
	v_cmp_eq_u32_e64 s3, s3, v33
	s_delay_alu instid0(VALU_DEP_1)
	s_and_saveexec_b32 s4, s3
	s_cbranch_execz .LBB3_14
; %bb.9:
	v_mov_b32_e32 v0, 0
	s_mov_b32 s5, exec_lo
	s_waitcnt lgkmcnt(0)
	global_load_b64 v[3:4], v0, s[8:9] offset:24 glc
	s_waitcnt vmcnt(0)
	buffer_gl1_inv
	buffer_gl0_inv
	s_clause 0x1
	global_load_b64 v[1:2], v0, s[8:9] offset:40
	global_load_b64 v[5:6], v0, s[8:9]
	s_waitcnt vmcnt(1)
	v_and_b32_e32 v1, v1, v3
	v_and_b32_e32 v2, v2, v4
	s_delay_alu instid0(VALU_DEP_2) | instskip(NEXT) | instid1(VALU_DEP_2)
	v_mul_hi_u32 v7, v1, 24
	v_mul_lo_u32 v2, v2, 24
	v_mul_lo_u32 v1, v1, 24
	s_delay_alu instid0(VALU_DEP_2) | instskip(SKIP_1) | instid1(VALU_DEP_2)
	v_add_nc_u32_e32 v2, v7, v2
	s_waitcnt vmcnt(0)
	v_add_co_u32 v1, vcc_lo, v5, v1
	s_delay_alu instid0(VALU_DEP_2)
	v_add_co_ci_u32_e32 v2, vcc_lo, v6, v2, vcc_lo
	global_load_b64 v[1:2], v[1:2], off glc
	s_waitcnt vmcnt(0)
	global_atomic_cmpswap_b64 v[6:7], v0, v[1:4], s[8:9] offset:24 glc
	s_waitcnt vmcnt(0)
	buffer_gl1_inv
	buffer_gl0_inv
	v_cmpx_ne_u64_e64 v[6:7], v[3:4]
	s_cbranch_execz .LBB3_13
; %bb.10:
	s_mov_b32 s10, 0
	.p2align	6
.LBB3_11:                               ; =>This Inner Loop Header: Depth=1
	s_sleep 1
	s_clause 0x1
	global_load_b64 v[1:2], v0, s[8:9] offset:40
	global_load_b64 v[8:9], v0, s[8:9]
	v_dual_mov_b32 v3, v6 :: v_dual_mov_b32 v4, v7
	s_waitcnt vmcnt(1)
	s_delay_alu instid0(VALU_DEP_1) | instskip(NEXT) | instid1(VALU_DEP_2)
	v_and_b32_e32 v1, v1, v3
	v_and_b32_e32 v2, v2, v4
	s_waitcnt vmcnt(0)
	s_delay_alu instid0(VALU_DEP_2) | instskip(NEXT) | instid1(VALU_DEP_1)
	v_mad_u64_u32 v[5:6], null, v1, 24, v[8:9]
	v_mov_b32_e32 v1, v6
	s_delay_alu instid0(VALU_DEP_1)
	v_mad_u64_u32 v[6:7], null, v2, 24, v[1:2]
	global_load_b64 v[1:2], v[5:6], off glc
	s_waitcnt vmcnt(0)
	global_atomic_cmpswap_b64 v[6:7], v0, v[1:4], s[8:9] offset:24 glc
	s_waitcnt vmcnt(0)
	buffer_gl1_inv
	buffer_gl0_inv
	v_cmp_eq_u64_e32 vcc_lo, v[6:7], v[3:4]
	s_or_b32 s10, vcc_lo, s10
	s_delay_alu instid0(SALU_CYCLE_1)
	s_and_not1_b32 exec_lo, exec_lo, s10
	s_cbranch_execnz .LBB3_11
; %bb.12:
	s_or_b32 exec_lo, exec_lo, s10
.LBB3_13:
	s_delay_alu instid0(SALU_CYCLE_1)
	s_or_b32 exec_lo, exec_lo, s5
.LBB3_14:
	s_delay_alu instid0(SALU_CYCLE_1)
	s_or_b32 exec_lo, exec_lo, s4
	v_mov_b32_e32 v5, 0
	v_readfirstlane_b32 s4, v6
	v_readfirstlane_b32 s5, v7
	s_mov_b32 s12, exec_lo
	s_waitcnt lgkmcnt(0)
	s_clause 0x1
	global_load_b64 v[8:9], v5, s[8:9] offset:40
	global_load_b128 v[0:3], v5, s[8:9]
	s_waitcnt vmcnt(1)
	v_readfirstlane_b32 s10, v8
	v_readfirstlane_b32 s11, v9
	s_delay_alu instid0(VALU_DEP_1) | instskip(NEXT) | instid1(SALU_CYCLE_1)
	s_and_b64 s[10:11], s[4:5], s[10:11]
	s_mul_i32 s13, s11, 24
	s_mul_hi_u32 s14, s10, 24
	s_mul_i32 s15, s10, 24
	s_add_i32 s14, s14, s13
	s_waitcnt vmcnt(0)
	v_add_co_u32 v8, vcc_lo, v0, s15
	v_add_co_ci_u32_e32 v9, vcc_lo, s14, v1, vcc_lo
	s_and_saveexec_b32 s13, s3
	s_cbranch_execz .LBB3_16
; %bb.15:
	v_dual_mov_b32 v4, s12 :: v_dual_mov_b32 v7, 1
	v_mov_b32_e32 v6, 2
	global_store_b128 v[8:9], v[4:7], off offset:8
.LBB3_16:
	s_or_b32 exec_lo, exec_lo, s13
	s_lshl_b64 s[10:11], s[10:11], 12
	v_dual_mov_b32 v4, 33 :: v_dual_lshlrev_b32 v31, 6, v33
	v_add_co_u32 v2, vcc_lo, v2, s10
	v_add_co_ci_u32_e32 v3, vcc_lo, s11, v3, vcc_lo
	s_mov_b32 s12, 0
	s_delay_alu instid0(VALU_DEP_2)
	v_add_co_u32 v10, vcc_lo, v2, v31
	s_mov_b32 s13, s12
	s_mov_b32 s14, s12
	;; [unrolled: 1-line block ×3, first 2 shown]
	v_mov_b32_e32 v6, v5
	v_dual_mov_b32 v7, v5 :: v_dual_mov_b32 v12, s12
	v_readfirstlane_b32 s10, v2
	v_readfirstlane_b32 s11, v3
	v_add_co_ci_u32_e32 v11, vcc_lo, 0, v3, vcc_lo
	v_dual_mov_b32 v13, s13 :: v_dual_mov_b32 v14, s14
	v_mov_b32_e32 v15, s15
	s_clause 0x3
	global_store_b128 v31, v[4:7], s[10:11]
	global_store_b128 v31, v[12:15], s[10:11] offset:16
	global_store_b128 v31, v[12:15], s[10:11] offset:32
	global_store_b128 v31, v[12:15], s[10:11] offset:48
	s_and_saveexec_b32 s10, s3
	s_cbranch_execz .LBB3_23
; %bb.17:
	v_mov_b32_e32 v6, 0
	s_mov_b32 s11, exec_lo
	s_clause 0x1
	global_load_b64 v[14:15], v6, s[8:9] offset:32 glc
	global_load_b64 v[2:3], v6, s[8:9] offset:40
	v_dual_mov_b32 v13, s5 :: v_dual_mov_b32 v12, s4
	s_waitcnt vmcnt(0)
	v_and_b32_e32 v3, s5, v3
	v_and_b32_e32 v2, s4, v2
	s_delay_alu instid0(VALU_DEP_2) | instskip(NEXT) | instid1(VALU_DEP_2)
	v_mul_lo_u32 v3, v3, 24
	v_mul_hi_u32 v4, v2, 24
	v_mul_lo_u32 v2, v2, 24
	s_delay_alu instid0(VALU_DEP_2) | instskip(NEXT) | instid1(VALU_DEP_2)
	v_add_nc_u32_e32 v3, v4, v3
	v_add_co_u32 v4, vcc_lo, v0, v2
	s_delay_alu instid0(VALU_DEP_2)
	v_add_co_ci_u32_e32 v5, vcc_lo, v1, v3, vcc_lo
	global_store_b64 v[4:5], v[14:15], off
	s_waitcnt_vscnt null, 0x0
	global_atomic_cmpswap_b64 v[2:3], v6, v[12:15], s[8:9] offset:32 glc
	s_waitcnt vmcnt(0)
	v_cmpx_ne_u64_e64 v[2:3], v[14:15]
	s_cbranch_execz .LBB3_19
.LBB3_18:                               ; =>This Inner Loop Header: Depth=1
	v_dual_mov_b32 v0, s4 :: v_dual_mov_b32 v1, s5
	s_sleep 1
	global_store_b64 v[4:5], v[2:3], off
	s_waitcnt_vscnt null, 0x0
	global_atomic_cmpswap_b64 v[0:1], v6, v[0:3], s[8:9] offset:32 glc
	s_waitcnt vmcnt(0)
	v_cmp_eq_u64_e32 vcc_lo, v[0:1], v[2:3]
	v_dual_mov_b32 v3, v1 :: v_dual_mov_b32 v2, v0
	s_or_b32 s12, vcc_lo, s12
	s_delay_alu instid0(SALU_CYCLE_1)
	s_and_not1_b32 exec_lo, exec_lo, s12
	s_cbranch_execnz .LBB3_18
.LBB3_19:
	s_or_b32 exec_lo, exec_lo, s11
	v_mov_b32_e32 v3, 0
	s_mov_b32 s12, exec_lo
	s_mov_b32 s11, exec_lo
	v_mbcnt_lo_u32_b32 v2, s12, 0
	global_load_b64 v[0:1], v3, s[8:9] offset:16
	v_cmpx_eq_u32_e32 0, v2
	s_cbranch_execz .LBB3_21
; %bb.20:
	s_bcnt1_i32_b32 s12, s12
	s_delay_alu instid0(SALU_CYCLE_1)
	v_mov_b32_e32 v2, s12
	s_waitcnt vmcnt(0)
	global_atomic_add_u64 v[0:1], v[2:3], off offset:8
.LBB3_21:
	s_or_b32 exec_lo, exec_lo, s11
	s_waitcnt vmcnt(0)
	global_load_b64 v[2:3], v[0:1], off offset:16
	s_waitcnt vmcnt(0)
	v_cmp_eq_u64_e32 vcc_lo, 0, v[2:3]
	s_cbranch_vccnz .LBB3_23
; %bb.22:
	global_load_b32 v0, v[0:1], off offset:24
	s_waitcnt vmcnt(0)
	v_dual_mov_b32 v1, 0 :: v_dual_and_b32 v4, 0xffffff, v0
	s_waitcnt_vscnt null, 0x0
	global_store_b64 v[2:3], v[0:1], off
	v_readfirstlane_b32 m0, v4
	s_sendmsg sendmsg(MSG_INTERRUPT)
.LBB3_23:
	s_or_b32 exec_lo, exec_lo, s10
	s_branch .LBB3_27
	.p2align	6
.LBB3_24:                               ;   in Loop: Header=BB3_27 Depth=1
	s_or_b32 exec_lo, exec_lo, s10
	s_delay_alu instid0(VALU_DEP_1) | instskip(NEXT) | instid1(VALU_DEP_1)
	v_readfirstlane_b32 s10, v0
	s_cmp_eq_u32 s10, 0
	s_cbranch_scc1 .LBB3_26
; %bb.25:                               ;   in Loop: Header=BB3_27 Depth=1
	s_sleep 1
	s_cbranch_execnz .LBB3_27
	s_branch .LBB3_29
	.p2align	6
.LBB3_26:
	s_branch .LBB3_29
.LBB3_27:                               ; =>This Inner Loop Header: Depth=1
	v_mov_b32_e32 v0, 1
	s_and_saveexec_b32 s10, s3
	s_cbranch_execz .LBB3_24
; %bb.28:                               ;   in Loop: Header=BB3_27 Depth=1
	global_load_b32 v0, v[8:9], off offset:20 glc
	s_waitcnt vmcnt(0)
	buffer_gl1_inv
	buffer_gl0_inv
	v_and_b32_e32 v0, 1, v0
	s_branch .LBB3_24
.LBB3_29:
	global_load_b64 v[0:1], v[10:11], off
	s_and_saveexec_b32 s10, s3
	s_cbranch_execz .LBB3_33
; %bb.30:
	v_mov_b32_e32 v8, 0
	s_clause 0x2
	global_load_b64 v[4:5], v8, s[8:9] offset:40
	global_load_b64 v[9:10], v8, s[8:9] offset:24 glc
	global_load_b64 v[6:7], v8, s[8:9]
	s_waitcnt vmcnt(2)
	v_add_co_u32 v11, vcc_lo, v4, 1
	v_add_co_ci_u32_e32 v12, vcc_lo, 0, v5, vcc_lo
	s_delay_alu instid0(VALU_DEP_2) | instskip(NEXT) | instid1(VALU_DEP_2)
	v_add_co_u32 v2, vcc_lo, v11, s4
	v_add_co_ci_u32_e32 v3, vcc_lo, s5, v12, vcc_lo
	s_delay_alu instid0(VALU_DEP_1) | instskip(SKIP_1) | instid1(VALU_DEP_1)
	v_cmp_eq_u64_e32 vcc_lo, 0, v[2:3]
	v_dual_cndmask_b32 v3, v3, v12 :: v_dual_cndmask_b32 v2, v2, v11
	v_and_b32_e32 v5, v3, v5
	s_delay_alu instid0(VALU_DEP_2) | instskip(NEXT) | instid1(VALU_DEP_2)
	v_and_b32_e32 v4, v2, v4
	v_mul_lo_u32 v5, v5, 24
	s_delay_alu instid0(VALU_DEP_2) | instskip(SKIP_1) | instid1(VALU_DEP_2)
	v_mul_hi_u32 v11, v4, 24
	v_mul_lo_u32 v4, v4, 24
	v_add_nc_u32_e32 v5, v11, v5
	s_waitcnt vmcnt(0)
	s_delay_alu instid0(VALU_DEP_2) | instskip(SKIP_1) | instid1(VALU_DEP_3)
	v_add_co_u32 v6, vcc_lo, v6, v4
	v_mov_b32_e32 v4, v9
	v_add_co_ci_u32_e32 v7, vcc_lo, v7, v5, vcc_lo
	v_mov_b32_e32 v5, v10
	global_store_b64 v[6:7], v[9:10], off
	s_waitcnt_vscnt null, 0x0
	global_atomic_cmpswap_b64 v[4:5], v8, v[2:5], s[8:9] offset:24 glc
	s_waitcnt vmcnt(0)
	v_cmp_ne_u64_e32 vcc_lo, v[4:5], v[9:10]
	s_and_b32 exec_lo, exec_lo, vcc_lo
	s_cbranch_execz .LBB3_33
; %bb.31:
	s_mov_b32 s3, 0
.LBB3_32:                               ; =>This Inner Loop Header: Depth=1
	s_sleep 1
	global_store_b64 v[6:7], v[4:5], off
	s_waitcnt_vscnt null, 0x0
	global_atomic_cmpswap_b64 v[9:10], v8, v[2:5], s[8:9] offset:24 glc
	s_waitcnt vmcnt(0)
	v_cmp_eq_u64_e32 vcc_lo, v[9:10], v[4:5]
	v_dual_mov_b32 v4, v9 :: v_dual_mov_b32 v5, v10
	s_or_b32 s3, vcc_lo, s3
	s_delay_alu instid0(SALU_CYCLE_1)
	s_and_not1_b32 exec_lo, exec_lo, s3
	s_cbranch_execnz .LBB3_32
.LBB3_33:
	s_or_b32 exec_lo, exec_lo, s10
	s_getpc_b64 s[10:11]
	s_add_u32 s10, s10, .str@rel32@lo+4
	s_addc_u32 s11, s11, .str@rel32@hi+12
	s_delay_alu instid0(SALU_CYCLE_1)
	s_cmp_lg_u64 s[10:11], 0
	s_cbranch_scc0 .LBB3_112
; %bb.34:
	s_waitcnt vmcnt(0)
	v_dual_mov_b32 v6, 0 :: v_dual_and_b32 v35, 2, v0
	v_dual_mov_b32 v3, v1 :: v_dual_and_b32 v2, -3, v0
	v_dual_mov_b32 v7, 2 :: v_dual_mov_b32 v8, 1
	s_mov_b64 s[12:13], 51
	s_branch .LBB3_36
.LBB3_35:                               ;   in Loop: Header=BB3_36 Depth=1
	s_or_b32 exec_lo, exec_lo, s4
	s_sub_u32 s12, s12, s14
	s_subb_u32 s13, s13, s15
	s_add_u32 s10, s10, s14
	s_addc_u32 s11, s11, s15
	s_cmp_lg_u64 s[12:13], 0
	s_cbranch_scc0 .LBB3_111
.LBB3_36:                               ; =>This Loop Header: Depth=1
                                        ;     Child Loop BB3_45 Depth 2
                                        ;     Child Loop BB3_41 Depth 2
	;; [unrolled: 1-line block ×11, first 2 shown]
	v_cmp_lt_u64_e64 s3, s[12:13], 56
	v_cmp_gt_u64_e64 s4, s[12:13], 7
                                        ; implicit-def: $vgpr11_vgpr12
	s_delay_alu instid0(VALU_DEP_2) | instskip(SKIP_2) | instid1(VALU_DEP_1)
	s_and_b32 s3, s3, exec_lo
	s_cselect_b32 s15, s13, 0
	s_cselect_b32 s14, s12, 56
	s_and_b32 vcc_lo, exec_lo, s4
	s_mov_b32 s4, -1
                                        ; implicit-def: $sgpr3
	s_cbranch_vccz .LBB3_43
; %bb.37:                               ;   in Loop: Header=BB3_36 Depth=1
	s_and_not1_b32 vcc_lo, exec_lo, s4
	s_mov_b64 s[4:5], s[10:11]
	s_cbranch_vccz .LBB3_47
.LBB3_38:                               ;   in Loop: Header=BB3_36 Depth=1
	s_cmp_gt_u32 s3, 7
	s_cbranch_scc1 .LBB3_48
.LBB3_39:                               ;   in Loop: Header=BB3_36 Depth=1
	v_mov_b32_e32 v13, 0
	v_mov_b32_e32 v14, 0
	s_cmp_eq_u32 s3, 0
	s_cbranch_scc1 .LBB3_42
; %bb.40:                               ;   in Loop: Header=BB3_36 Depth=1
	s_mov_b64 s[16:17], 0
	s_mov_b64 s[18:19], 0
.LBB3_41:                               ;   Parent Loop BB3_36 Depth=1
                                        ; =>  This Inner Loop Header: Depth=2
	s_delay_alu instid0(SALU_CYCLE_1)
	s_add_u32 s26, s4, s18
	s_addc_u32 s27, s5, s19
	s_add_u32 s18, s18, 1
	global_load_u8 v4, v6, s[26:27]
	s_addc_u32 s19, s19, 0
	s_waitcnt vmcnt(0)
	v_and_b32_e32 v5, 0xffff, v4
	s_delay_alu instid0(VALU_DEP_1) | instskip(SKIP_3) | instid1(VALU_DEP_1)
	v_lshlrev_b64 v[4:5], s16, v[5:6]
	s_add_u32 s16, s16, 8
	s_addc_u32 s17, s17, 0
	s_cmp_lg_u32 s3, s18
	v_or_b32_e32 v13, v4, v13
	s_delay_alu instid0(VALU_DEP_2)
	v_or_b32_e32 v14, v5, v14
	s_cbranch_scc1 .LBB3_41
.LBB3_42:                               ;   in Loop: Header=BB3_36 Depth=1
	s_mov_b32 s26, 0
	s_cbranch_execz .LBB3_49
	s_branch .LBB3_50
.LBB3_43:                               ;   in Loop: Header=BB3_36 Depth=1
	v_mov_b32_e32 v11, 0
	v_mov_b32_e32 v12, 0
	s_cmp_eq_u64 s[12:13], 0
	s_mov_b64 s[4:5], 0
	s_cbranch_scc1 .LBB3_46
; %bb.44:                               ;   in Loop: Header=BB3_36 Depth=1
	v_mov_b32_e32 v11, 0
	v_mov_b32_e32 v12, 0
	s_lshl_b64 s[16:17], s[14:15], 3
	s_mov_b64 s[18:19], s[10:11]
.LBB3_45:                               ;   Parent Loop BB3_36 Depth=1
                                        ; =>  This Inner Loop Header: Depth=2
	global_load_u8 v4, v6, s[18:19]
	s_waitcnt vmcnt(0)
	v_and_b32_e32 v5, 0xffff, v4
	s_delay_alu instid0(VALU_DEP_1)
	v_lshlrev_b64 v[4:5], s4, v[5:6]
	s_add_u32 s4, s4, 8
	s_addc_u32 s5, s5, 0
	s_add_u32 s18, s18, 1
	s_addc_u32 s19, s19, 0
	s_cmp_lg_u32 s16, s4
	v_or_b32_e32 v11, v4, v11
	v_or_b32_e32 v12, v5, v12
	s_cbranch_scc1 .LBB3_45
.LBB3_46:                               ;   in Loop: Header=BB3_36 Depth=1
	s_mov_b32 s3, 0
	s_mov_b64 s[4:5], s[10:11]
	s_cbranch_execnz .LBB3_38
.LBB3_47:                               ;   in Loop: Header=BB3_36 Depth=1
	global_load_b64 v[11:12], v6, s[10:11]
	s_add_i32 s3, s14, -8
	s_add_u32 s4, s10, 8
	s_addc_u32 s5, s11, 0
	s_cmp_gt_u32 s3, 7
	s_cbranch_scc0 .LBB3_39
.LBB3_48:                               ;   in Loop: Header=BB3_36 Depth=1
                                        ; implicit-def: $vgpr13_vgpr14
                                        ; implicit-def: $sgpr26
.LBB3_49:                               ;   in Loop: Header=BB3_36 Depth=1
	global_load_b64 v[13:14], v6, s[4:5]
	s_add_i32 s26, s3, -8
	s_add_u32 s4, s4, 8
	s_addc_u32 s5, s5, 0
.LBB3_50:                               ;   in Loop: Header=BB3_36 Depth=1
	s_cmp_gt_u32 s26, 7
	s_cbranch_scc1 .LBB3_55
; %bb.51:                               ;   in Loop: Header=BB3_36 Depth=1
	v_mov_b32_e32 v15, 0
	v_mov_b32_e32 v16, 0
	s_cmp_eq_u32 s26, 0
	s_cbranch_scc1 .LBB3_54
; %bb.52:                               ;   in Loop: Header=BB3_36 Depth=1
	s_mov_b64 s[16:17], 0
	s_mov_b64 s[18:19], 0
.LBB3_53:                               ;   Parent Loop BB3_36 Depth=1
                                        ; =>  This Inner Loop Header: Depth=2
	s_delay_alu instid0(SALU_CYCLE_1)
	s_add_u32 s28, s4, s18
	s_addc_u32 s29, s5, s19
	s_add_u32 s18, s18, 1
	global_load_u8 v4, v6, s[28:29]
	s_addc_u32 s19, s19, 0
	s_waitcnt vmcnt(0)
	v_and_b32_e32 v5, 0xffff, v4
	s_delay_alu instid0(VALU_DEP_1) | instskip(SKIP_3) | instid1(VALU_DEP_1)
	v_lshlrev_b64 v[4:5], s16, v[5:6]
	s_add_u32 s16, s16, 8
	s_addc_u32 s17, s17, 0
	s_cmp_lg_u32 s26, s18
	v_or_b32_e32 v15, v4, v15
	s_delay_alu instid0(VALU_DEP_2)
	v_or_b32_e32 v16, v5, v16
	s_cbranch_scc1 .LBB3_53
.LBB3_54:                               ;   in Loop: Header=BB3_36 Depth=1
	s_mov_b32 s3, 0
	s_cbranch_execz .LBB3_56
	s_branch .LBB3_57
.LBB3_55:                               ;   in Loop: Header=BB3_36 Depth=1
                                        ; implicit-def: $sgpr3
.LBB3_56:                               ;   in Loop: Header=BB3_36 Depth=1
	global_load_b64 v[15:16], v6, s[4:5]
	s_add_i32 s3, s26, -8
	s_add_u32 s4, s4, 8
	s_addc_u32 s5, s5, 0
.LBB3_57:                               ;   in Loop: Header=BB3_36 Depth=1
	s_cmp_gt_u32 s3, 7
	s_cbranch_scc1 .LBB3_62
; %bb.58:                               ;   in Loop: Header=BB3_36 Depth=1
	v_mov_b32_e32 v17, 0
	v_mov_b32_e32 v18, 0
	s_cmp_eq_u32 s3, 0
	s_cbranch_scc1 .LBB3_61
; %bb.59:                               ;   in Loop: Header=BB3_36 Depth=1
	s_mov_b64 s[16:17], 0
	s_mov_b64 s[18:19], 0
.LBB3_60:                               ;   Parent Loop BB3_36 Depth=1
                                        ; =>  This Inner Loop Header: Depth=2
	s_delay_alu instid0(SALU_CYCLE_1)
	s_add_u32 s26, s4, s18
	s_addc_u32 s27, s5, s19
	s_add_u32 s18, s18, 1
	global_load_u8 v4, v6, s[26:27]
	s_addc_u32 s19, s19, 0
	s_waitcnt vmcnt(0)
	v_and_b32_e32 v5, 0xffff, v4
	s_delay_alu instid0(VALU_DEP_1) | instskip(SKIP_3) | instid1(VALU_DEP_1)
	v_lshlrev_b64 v[4:5], s16, v[5:6]
	s_add_u32 s16, s16, 8
	s_addc_u32 s17, s17, 0
	s_cmp_lg_u32 s3, s18
	v_or_b32_e32 v17, v4, v17
	s_delay_alu instid0(VALU_DEP_2)
	v_or_b32_e32 v18, v5, v18
	s_cbranch_scc1 .LBB3_60
.LBB3_61:                               ;   in Loop: Header=BB3_36 Depth=1
	s_mov_b32 s26, 0
	s_cbranch_execz .LBB3_63
	s_branch .LBB3_64
.LBB3_62:                               ;   in Loop: Header=BB3_36 Depth=1
                                        ; implicit-def: $vgpr17_vgpr18
                                        ; implicit-def: $sgpr26
.LBB3_63:                               ;   in Loop: Header=BB3_36 Depth=1
	global_load_b64 v[17:18], v6, s[4:5]
	s_add_i32 s26, s3, -8
	s_add_u32 s4, s4, 8
	s_addc_u32 s5, s5, 0
.LBB3_64:                               ;   in Loop: Header=BB3_36 Depth=1
	s_cmp_gt_u32 s26, 7
	s_cbranch_scc1 .LBB3_69
; %bb.65:                               ;   in Loop: Header=BB3_36 Depth=1
	v_mov_b32_e32 v19, 0
	v_mov_b32_e32 v20, 0
	s_cmp_eq_u32 s26, 0
	s_cbranch_scc1 .LBB3_68
; %bb.66:                               ;   in Loop: Header=BB3_36 Depth=1
	s_mov_b64 s[16:17], 0
	s_mov_b64 s[18:19], 0
.LBB3_67:                               ;   Parent Loop BB3_36 Depth=1
                                        ; =>  This Inner Loop Header: Depth=2
	s_delay_alu instid0(SALU_CYCLE_1)
	s_add_u32 s28, s4, s18
	s_addc_u32 s29, s5, s19
	s_add_u32 s18, s18, 1
	global_load_u8 v4, v6, s[28:29]
	s_addc_u32 s19, s19, 0
	s_waitcnt vmcnt(0)
	v_and_b32_e32 v5, 0xffff, v4
	s_delay_alu instid0(VALU_DEP_1) | instskip(SKIP_3) | instid1(VALU_DEP_1)
	v_lshlrev_b64 v[4:5], s16, v[5:6]
	s_add_u32 s16, s16, 8
	s_addc_u32 s17, s17, 0
	s_cmp_lg_u32 s26, s18
	v_or_b32_e32 v19, v4, v19
	s_delay_alu instid0(VALU_DEP_2)
	v_or_b32_e32 v20, v5, v20
	s_cbranch_scc1 .LBB3_67
.LBB3_68:                               ;   in Loop: Header=BB3_36 Depth=1
	s_mov_b32 s3, 0
	s_cbranch_execz .LBB3_70
	s_branch .LBB3_71
.LBB3_69:                               ;   in Loop: Header=BB3_36 Depth=1
                                        ; implicit-def: $sgpr3
.LBB3_70:                               ;   in Loop: Header=BB3_36 Depth=1
	global_load_b64 v[19:20], v6, s[4:5]
	s_add_i32 s3, s26, -8
	s_add_u32 s4, s4, 8
	s_addc_u32 s5, s5, 0
.LBB3_71:                               ;   in Loop: Header=BB3_36 Depth=1
	s_cmp_gt_u32 s3, 7
	s_cbranch_scc1 .LBB3_76
; %bb.72:                               ;   in Loop: Header=BB3_36 Depth=1
	v_mov_b32_e32 v21, 0
	v_mov_b32_e32 v22, 0
	s_cmp_eq_u32 s3, 0
	s_cbranch_scc1 .LBB3_75
; %bb.73:                               ;   in Loop: Header=BB3_36 Depth=1
	s_mov_b64 s[16:17], 0
	s_mov_b64 s[18:19], 0
.LBB3_74:                               ;   Parent Loop BB3_36 Depth=1
                                        ; =>  This Inner Loop Header: Depth=2
	s_delay_alu instid0(SALU_CYCLE_1)
	s_add_u32 s26, s4, s18
	s_addc_u32 s27, s5, s19
	s_add_u32 s18, s18, 1
	global_load_u8 v4, v6, s[26:27]
	s_addc_u32 s19, s19, 0
	s_waitcnt vmcnt(0)
	v_and_b32_e32 v5, 0xffff, v4
	s_delay_alu instid0(VALU_DEP_1) | instskip(SKIP_3) | instid1(VALU_DEP_1)
	v_lshlrev_b64 v[4:5], s16, v[5:6]
	s_add_u32 s16, s16, 8
	s_addc_u32 s17, s17, 0
	s_cmp_lg_u32 s3, s18
	v_or_b32_e32 v21, v4, v21
	s_delay_alu instid0(VALU_DEP_2)
	v_or_b32_e32 v22, v5, v22
	s_cbranch_scc1 .LBB3_74
.LBB3_75:                               ;   in Loop: Header=BB3_36 Depth=1
	s_mov_b32 s26, 0
	s_cbranch_execz .LBB3_77
	s_branch .LBB3_78
.LBB3_76:                               ;   in Loop: Header=BB3_36 Depth=1
                                        ; implicit-def: $vgpr21_vgpr22
                                        ; implicit-def: $sgpr26
.LBB3_77:                               ;   in Loop: Header=BB3_36 Depth=1
	global_load_b64 v[21:22], v6, s[4:5]
	s_add_i32 s26, s3, -8
	s_add_u32 s4, s4, 8
	s_addc_u32 s5, s5, 0
.LBB3_78:                               ;   in Loop: Header=BB3_36 Depth=1
	s_cmp_gt_u32 s26, 7
	s_cbranch_scc1 .LBB3_83
; %bb.79:                               ;   in Loop: Header=BB3_36 Depth=1
	v_mov_b32_e32 v23, 0
	v_mov_b32_e32 v24, 0
	s_cmp_eq_u32 s26, 0
	s_cbranch_scc1 .LBB3_82
; %bb.80:                               ;   in Loop: Header=BB3_36 Depth=1
	s_mov_b64 s[16:17], 0
	s_mov_b64 s[18:19], s[4:5]
.LBB3_81:                               ;   Parent Loop BB3_36 Depth=1
                                        ; =>  This Inner Loop Header: Depth=2
	global_load_u8 v4, v6, s[18:19]
	s_add_i32 s26, s26, -1
	s_waitcnt vmcnt(0)
	v_and_b32_e32 v5, 0xffff, v4
	s_delay_alu instid0(VALU_DEP_1)
	v_lshlrev_b64 v[4:5], s16, v[5:6]
	s_add_u32 s16, s16, 8
	s_addc_u32 s17, s17, 0
	s_add_u32 s18, s18, 1
	s_addc_u32 s19, s19, 0
	s_cmp_lg_u32 s26, 0
	v_or_b32_e32 v23, v4, v23
	v_or_b32_e32 v24, v5, v24
	s_cbranch_scc1 .LBB3_81
.LBB3_82:                               ;   in Loop: Header=BB3_36 Depth=1
	s_cbranch_execz .LBB3_84
	s_branch .LBB3_85
.LBB3_83:                               ;   in Loop: Header=BB3_36 Depth=1
.LBB3_84:                               ;   in Loop: Header=BB3_36 Depth=1
	global_load_b64 v[23:24], v6, s[4:5]
.LBB3_85:                               ;   in Loop: Header=BB3_36 Depth=1
	v_readfirstlane_b32 s3, v33
	s_waitcnt vmcnt(0)
	v_mov_b32_e32 v4, 0
	v_mov_b32_e32 v5, 0
	s_delay_alu instid0(VALU_DEP_3) | instskip(NEXT) | instid1(VALU_DEP_1)
	v_cmp_eq_u32_e64 s3, s3, v33
	s_and_saveexec_b32 s4, s3
	s_cbranch_execz .LBB3_91
; %bb.86:                               ;   in Loop: Header=BB3_36 Depth=1
	global_load_b64 v[27:28], v6, s[8:9] offset:24 glc
	s_waitcnt vmcnt(0)
	buffer_gl1_inv
	buffer_gl0_inv
	s_clause 0x1
	global_load_b64 v[4:5], v6, s[8:9] offset:40
	global_load_b64 v[9:10], v6, s[8:9]
	s_mov_b32 s5, exec_lo
	s_waitcnt vmcnt(1)
	v_and_b32_e32 v5, v5, v28
	v_and_b32_e32 v4, v4, v27
	s_delay_alu instid0(VALU_DEP_2) | instskip(NEXT) | instid1(VALU_DEP_2)
	v_mul_lo_u32 v5, v5, 24
	v_mul_hi_u32 v25, v4, 24
	v_mul_lo_u32 v4, v4, 24
	s_delay_alu instid0(VALU_DEP_2) | instskip(SKIP_1) | instid1(VALU_DEP_2)
	v_add_nc_u32_e32 v5, v25, v5
	s_waitcnt vmcnt(0)
	v_add_co_u32 v4, vcc_lo, v9, v4
	s_delay_alu instid0(VALU_DEP_2)
	v_add_co_ci_u32_e32 v5, vcc_lo, v10, v5, vcc_lo
	global_load_b64 v[25:26], v[4:5], off glc
	s_waitcnt vmcnt(0)
	global_atomic_cmpswap_b64 v[4:5], v6, v[25:28], s[8:9] offset:24 glc
	s_waitcnt vmcnt(0)
	buffer_gl1_inv
	buffer_gl0_inv
	v_cmpx_ne_u64_e64 v[4:5], v[27:28]
	s_cbranch_execz .LBB3_90
; %bb.87:                               ;   in Loop: Header=BB3_36 Depth=1
	s_mov_b32 s16, 0
	.p2align	6
.LBB3_88:                               ;   Parent Loop BB3_36 Depth=1
                                        ; =>  This Inner Loop Header: Depth=2
	s_sleep 1
	s_clause 0x1
	global_load_b64 v[9:10], v6, s[8:9] offset:40
	global_load_b64 v[25:26], v6, s[8:9]
	v_dual_mov_b32 v28, v5 :: v_dual_mov_b32 v27, v4
	s_waitcnt vmcnt(1)
	s_delay_alu instid0(VALU_DEP_1) | instskip(SKIP_1) | instid1(VALU_DEP_1)
	v_and_b32_e32 v9, v9, v27
	s_waitcnt vmcnt(0)
	v_mad_u64_u32 v[4:5], null, v9, 24, v[25:26]
	v_and_b32_e32 v25, v10, v28
	s_delay_alu instid0(VALU_DEP_1) | instskip(NEXT) | instid1(VALU_DEP_1)
	v_mad_u64_u32 v[9:10], null, v25, 24, v[5:6]
	v_mov_b32_e32 v5, v9
	global_load_b64 v[25:26], v[4:5], off glc
	s_waitcnt vmcnt(0)
	global_atomic_cmpswap_b64 v[4:5], v6, v[25:28], s[8:9] offset:24 glc
	s_waitcnt vmcnt(0)
	buffer_gl1_inv
	buffer_gl0_inv
	v_cmp_eq_u64_e32 vcc_lo, v[4:5], v[27:28]
	s_or_b32 s16, vcc_lo, s16
	s_delay_alu instid0(SALU_CYCLE_1)
	s_and_not1_b32 exec_lo, exec_lo, s16
	s_cbranch_execnz .LBB3_88
; %bb.89:                               ;   in Loop: Header=BB3_36 Depth=1
	s_or_b32 exec_lo, exec_lo, s16
.LBB3_90:                               ;   in Loop: Header=BB3_36 Depth=1
	s_delay_alu instid0(SALU_CYCLE_1)
	s_or_b32 exec_lo, exec_lo, s5
.LBB3_91:                               ;   in Loop: Header=BB3_36 Depth=1
	s_delay_alu instid0(SALU_CYCLE_1)
	s_or_b32 exec_lo, exec_lo, s4
	s_clause 0x1
	global_load_b64 v[9:10], v6, s[8:9] offset:40
	global_load_b128 v[25:28], v6, s[8:9]
	v_readfirstlane_b32 s16, v4
	v_readfirstlane_b32 s17, v5
	s_mov_b32 s18, exec_lo
	s_waitcnt vmcnt(1)
	v_readfirstlane_b32 s4, v9
	v_readfirstlane_b32 s5, v10
	s_delay_alu instid0(VALU_DEP_1) | instskip(NEXT) | instid1(SALU_CYCLE_1)
	s_and_b64 s[4:5], s[16:17], s[4:5]
	s_mul_i32 s19, s5, 24
	s_mul_hi_u32 s26, s4, 24
	s_mul_i32 s27, s4, 24
	s_add_i32 s26, s26, s19
	s_waitcnt vmcnt(0)
	v_add_co_u32 v29, vcc_lo, v25, s27
	v_add_co_ci_u32_e32 v30, vcc_lo, s26, v26, vcc_lo
	s_and_saveexec_b32 s19, s3
	s_cbranch_execz .LBB3_93
; %bb.92:                               ;   in Loop: Header=BB3_36 Depth=1
	v_mov_b32_e32 v5, s18
	global_store_b128 v[29:30], v[5:8], off offset:8
.LBB3_93:                               ;   in Loop: Header=BB3_36 Depth=1
	s_or_b32 exec_lo, exec_lo, s19
	s_lshl_b64 s[4:5], s[4:5], 12
	v_cmp_gt_u64_e64 vcc_lo, s[12:13], 56
	v_or_b32_e32 v5, v2, v35
	v_add_co_u32 v27, s4, v27, s4
	s_delay_alu instid0(VALU_DEP_1)
	v_add_co_ci_u32_e64 v28, s4, s5, v28, s4
	s_lshl_b32 s4, s14, 2
	v_or_b32_e32 v4, 0, v3
	v_cndmask_b32_e32 v2, v5, v2, vcc_lo
	s_add_i32 s4, s4, 28
	v_readfirstlane_b32 s5, v28
	s_and_b32 s18, s4, 0x1e0
	v_cndmask_b32_e32 v10, v4, v3, vcc_lo
	v_readfirstlane_b32 s4, v27
	v_and_or_b32 v9, 0xffffff1f, v2, s18
	s_clause 0x3
	global_store_b128 v31, v[9:12], s[4:5]
	global_store_b128 v31, v[13:16], s[4:5] offset:16
	global_store_b128 v31, v[17:20], s[4:5] offset:32
	;; [unrolled: 1-line block ×3, first 2 shown]
	s_and_saveexec_b32 s4, s3
	s_cbranch_execz .LBB3_101
; %bb.94:                               ;   in Loop: Header=BB3_36 Depth=1
	s_clause 0x1
	global_load_b64 v[13:14], v6, s[8:9] offset:32 glc
	global_load_b64 v[2:3], v6, s[8:9] offset:40
	v_dual_mov_b32 v11, s16 :: v_dual_mov_b32 v12, s17
	s_waitcnt vmcnt(0)
	v_readfirstlane_b32 s18, v2
	v_readfirstlane_b32 s19, v3
	s_delay_alu instid0(VALU_DEP_1) | instskip(NEXT) | instid1(SALU_CYCLE_1)
	s_and_b64 s[18:19], s[18:19], s[16:17]
	s_mul_i32 s5, s19, 24
	s_mul_hi_u32 s19, s18, 24
	s_mul_i32 s18, s18, 24
	s_add_i32 s19, s19, s5
	v_add_co_u32 v9, vcc_lo, v25, s18
	v_add_co_ci_u32_e32 v10, vcc_lo, s19, v26, vcc_lo
	s_mov_b32 s5, exec_lo
	global_store_b64 v[9:10], v[13:14], off
	s_waitcnt_vscnt null, 0x0
	global_atomic_cmpswap_b64 v[4:5], v6, v[11:14], s[8:9] offset:32 glc
	s_waitcnt vmcnt(0)
	v_cmpx_ne_u64_e64 v[4:5], v[13:14]
	s_cbranch_execz .LBB3_97
; %bb.95:                               ;   in Loop: Header=BB3_36 Depth=1
	s_mov_b32 s18, 0
.LBB3_96:                               ;   Parent Loop BB3_36 Depth=1
                                        ; =>  This Inner Loop Header: Depth=2
	v_dual_mov_b32 v2, s16 :: v_dual_mov_b32 v3, s17
	s_sleep 1
	global_store_b64 v[9:10], v[4:5], off
	s_waitcnt_vscnt null, 0x0
	global_atomic_cmpswap_b64 v[2:3], v6, v[2:5], s[8:9] offset:32 glc
	s_waitcnt vmcnt(0)
	v_cmp_eq_u64_e32 vcc_lo, v[2:3], v[4:5]
	v_dual_mov_b32 v5, v3 :: v_dual_mov_b32 v4, v2
	s_or_b32 s18, vcc_lo, s18
	s_delay_alu instid0(SALU_CYCLE_1)
	s_and_not1_b32 exec_lo, exec_lo, s18
	s_cbranch_execnz .LBB3_96
.LBB3_97:                               ;   in Loop: Header=BB3_36 Depth=1
	s_or_b32 exec_lo, exec_lo, s5
	global_load_b64 v[2:3], v6, s[8:9] offset:16
	s_mov_b32 s18, exec_lo
	s_mov_b32 s5, exec_lo
	v_mbcnt_lo_u32_b32 v4, s18, 0
	s_delay_alu instid0(VALU_DEP_1)
	v_cmpx_eq_u32_e32 0, v4
	s_cbranch_execz .LBB3_99
; %bb.98:                               ;   in Loop: Header=BB3_36 Depth=1
	s_bcnt1_i32_b32 s18, s18
	s_delay_alu instid0(SALU_CYCLE_1)
	v_mov_b32_e32 v5, s18
	s_waitcnt vmcnt(0)
	global_atomic_add_u64 v[2:3], v[5:6], off offset:8
.LBB3_99:                               ;   in Loop: Header=BB3_36 Depth=1
	s_or_b32 exec_lo, exec_lo, s5
	s_waitcnt vmcnt(0)
	global_load_b64 v[9:10], v[2:3], off offset:16
	s_waitcnt vmcnt(0)
	v_cmp_eq_u64_e32 vcc_lo, 0, v[9:10]
	s_cbranch_vccnz .LBB3_101
; %bb.100:                              ;   in Loop: Header=BB3_36 Depth=1
	global_load_b32 v5, v[2:3], off offset:24
	s_waitcnt vmcnt(0)
	v_and_b32_e32 v2, 0xffffff, v5
	s_waitcnt_vscnt null, 0x0
	global_store_b64 v[9:10], v[5:6], off
	v_readfirstlane_b32 m0, v2
	s_sendmsg sendmsg(MSG_INTERRUPT)
.LBB3_101:                              ;   in Loop: Header=BB3_36 Depth=1
	s_or_b32 exec_lo, exec_lo, s4
	v_add_co_u32 v2, vcc_lo, v27, v31
	v_add_co_ci_u32_e32 v3, vcc_lo, 0, v28, vcc_lo
	s_branch .LBB3_105
	.p2align	6
.LBB3_102:                              ;   in Loop: Header=BB3_105 Depth=2
	s_or_b32 exec_lo, exec_lo, s4
	s_delay_alu instid0(VALU_DEP_1) | instskip(NEXT) | instid1(VALU_DEP_1)
	v_readfirstlane_b32 s4, v4
	s_cmp_eq_u32 s4, 0
	s_cbranch_scc1 .LBB3_104
; %bb.103:                              ;   in Loop: Header=BB3_105 Depth=2
	s_sleep 1
	s_cbranch_execnz .LBB3_105
	s_branch .LBB3_107
	.p2align	6
.LBB3_104:                              ;   in Loop: Header=BB3_36 Depth=1
	s_branch .LBB3_107
.LBB3_105:                              ;   Parent Loop BB3_36 Depth=1
                                        ; =>  This Inner Loop Header: Depth=2
	v_mov_b32_e32 v4, 1
	s_and_saveexec_b32 s4, s3
	s_cbranch_execz .LBB3_102
; %bb.106:                              ;   in Loop: Header=BB3_105 Depth=2
	global_load_b32 v4, v[29:30], off offset:20 glc
	s_waitcnt vmcnt(0)
	buffer_gl1_inv
	buffer_gl0_inv
	v_and_b32_e32 v4, 1, v4
	s_branch .LBB3_102
.LBB3_107:                              ;   in Loop: Header=BB3_36 Depth=1
	global_load_b128 v[2:5], v[2:3], off
	s_and_saveexec_b32 s4, s3
	s_cbranch_execz .LBB3_35
; %bb.108:                              ;   in Loop: Header=BB3_36 Depth=1
	s_clause 0x2
	global_load_b64 v[4:5], v6, s[8:9] offset:40
	global_load_b64 v[13:14], v6, s[8:9] offset:24 glc
	global_load_b64 v[11:12], v6, s[8:9]
	s_waitcnt vmcnt(2)
	v_add_co_u32 v15, vcc_lo, v4, 1
	v_add_co_ci_u32_e32 v16, vcc_lo, 0, v5, vcc_lo
	s_delay_alu instid0(VALU_DEP_2) | instskip(NEXT) | instid1(VALU_DEP_2)
	v_add_co_u32 v9, vcc_lo, v15, s16
	v_add_co_ci_u32_e32 v10, vcc_lo, s17, v16, vcc_lo
	s_delay_alu instid0(VALU_DEP_1) | instskip(SKIP_1) | instid1(VALU_DEP_1)
	v_cmp_eq_u64_e32 vcc_lo, 0, v[9:10]
	v_dual_cndmask_b32 v10, v10, v16 :: v_dual_cndmask_b32 v9, v9, v15
	v_and_b32_e32 v5, v10, v5
	s_delay_alu instid0(VALU_DEP_2) | instskip(NEXT) | instid1(VALU_DEP_2)
	v_and_b32_e32 v4, v9, v4
	v_mul_lo_u32 v5, v5, 24
	s_delay_alu instid0(VALU_DEP_2) | instskip(SKIP_1) | instid1(VALU_DEP_2)
	v_mul_hi_u32 v15, v4, 24
	v_mul_lo_u32 v4, v4, 24
	v_add_nc_u32_e32 v5, v15, v5
	s_waitcnt vmcnt(0)
	s_delay_alu instid0(VALU_DEP_2) | instskip(SKIP_1) | instid1(VALU_DEP_3)
	v_add_co_u32 v4, vcc_lo, v11, v4
	v_mov_b32_e32 v11, v13
	v_add_co_ci_u32_e32 v5, vcc_lo, v12, v5, vcc_lo
	v_mov_b32_e32 v12, v14
	global_store_b64 v[4:5], v[13:14], off
	s_waitcnt_vscnt null, 0x0
	global_atomic_cmpswap_b64 v[11:12], v6, v[9:12], s[8:9] offset:24 glc
	s_waitcnt vmcnt(0)
	v_cmp_ne_u64_e32 vcc_lo, v[11:12], v[13:14]
	s_and_b32 exec_lo, exec_lo, vcc_lo
	s_cbranch_execz .LBB3_35
; %bb.109:                              ;   in Loop: Header=BB3_36 Depth=1
	s_mov_b32 s3, 0
.LBB3_110:                              ;   Parent Loop BB3_36 Depth=1
                                        ; =>  This Inner Loop Header: Depth=2
	s_sleep 1
	global_store_b64 v[4:5], v[11:12], off
	s_waitcnt_vscnt null, 0x0
	global_atomic_cmpswap_b64 v[13:14], v6, v[9:12], s[8:9] offset:24 glc
	s_waitcnt vmcnt(0)
	v_cmp_eq_u64_e32 vcc_lo, v[13:14], v[11:12]
	v_dual_mov_b32 v11, v13 :: v_dual_mov_b32 v12, v14
	s_or_b32 s3, vcc_lo, s3
	s_delay_alu instid0(SALU_CYCLE_1)
	s_and_not1_b32 exec_lo, exec_lo, s3
	s_cbranch_execnz .LBB3_110
	s_branch .LBB3_35
.LBB3_111:
	s_branch .LBB3_140
.LBB3_112:
                                        ; implicit-def: $vgpr2_vgpr3
	s_cbranch_execz .LBB3_140
; %bb.113:
	v_readfirstlane_b32 s3, v33
	v_mov_b32_e32 v8, 0
	v_mov_b32_e32 v9, 0
	s_delay_alu instid0(VALU_DEP_3) | instskip(NEXT) | instid1(VALU_DEP_1)
	v_cmp_eq_u32_e64 s3, s3, v33
	s_and_saveexec_b32 s4, s3
	s_cbranch_execz .LBB3_119
; %bb.114:
	s_waitcnt vmcnt(0)
	v_mov_b32_e32 v2, 0
	s_mov_b32 s5, exec_lo
	global_load_b64 v[5:6], v2, s[8:9] offset:24 glc
	s_waitcnt vmcnt(0)
	buffer_gl1_inv
	buffer_gl0_inv
	s_clause 0x1
	global_load_b64 v[3:4], v2, s[8:9] offset:40
	global_load_b64 v[7:8], v2, s[8:9]
	s_waitcnt vmcnt(1)
	v_and_b32_e32 v3, v3, v5
	v_and_b32_e32 v4, v4, v6
	s_delay_alu instid0(VALU_DEP_2) | instskip(NEXT) | instid1(VALU_DEP_2)
	v_mul_hi_u32 v9, v3, 24
	v_mul_lo_u32 v4, v4, 24
	v_mul_lo_u32 v3, v3, 24
	s_delay_alu instid0(VALU_DEP_2) | instskip(SKIP_1) | instid1(VALU_DEP_2)
	v_add_nc_u32_e32 v4, v9, v4
	s_waitcnt vmcnt(0)
	v_add_co_u32 v3, vcc_lo, v7, v3
	s_delay_alu instid0(VALU_DEP_2)
	v_add_co_ci_u32_e32 v4, vcc_lo, v8, v4, vcc_lo
	global_load_b64 v[3:4], v[3:4], off glc
	s_waitcnt vmcnt(0)
	global_atomic_cmpswap_b64 v[8:9], v2, v[3:6], s[8:9] offset:24 glc
	s_waitcnt vmcnt(0)
	buffer_gl1_inv
	buffer_gl0_inv
	v_cmpx_ne_u64_e64 v[8:9], v[5:6]
	s_cbranch_execz .LBB3_118
; %bb.115:
	s_mov_b32 s10, 0
	.p2align	6
.LBB3_116:                              ; =>This Inner Loop Header: Depth=1
	s_sleep 1
	s_clause 0x1
	global_load_b64 v[3:4], v2, s[8:9] offset:40
	global_load_b64 v[10:11], v2, s[8:9]
	v_dual_mov_b32 v5, v8 :: v_dual_mov_b32 v6, v9
	s_waitcnt vmcnt(1)
	s_delay_alu instid0(VALU_DEP_1) | instskip(NEXT) | instid1(VALU_DEP_2)
	v_and_b32_e32 v3, v3, v5
	v_and_b32_e32 v4, v4, v6
	s_waitcnt vmcnt(0)
	s_delay_alu instid0(VALU_DEP_2) | instskip(NEXT) | instid1(VALU_DEP_1)
	v_mad_u64_u32 v[7:8], null, v3, 24, v[10:11]
	v_mov_b32_e32 v3, v8
	s_delay_alu instid0(VALU_DEP_1)
	v_mad_u64_u32 v[8:9], null, v4, 24, v[3:4]
	global_load_b64 v[3:4], v[7:8], off glc
	s_waitcnt vmcnt(0)
	global_atomic_cmpswap_b64 v[8:9], v2, v[3:6], s[8:9] offset:24 glc
	s_waitcnt vmcnt(0)
	buffer_gl1_inv
	buffer_gl0_inv
	v_cmp_eq_u64_e32 vcc_lo, v[8:9], v[5:6]
	s_or_b32 s10, vcc_lo, s10
	s_delay_alu instid0(SALU_CYCLE_1)
	s_and_not1_b32 exec_lo, exec_lo, s10
	s_cbranch_execnz .LBB3_116
; %bb.117:
	s_or_b32 exec_lo, exec_lo, s10
.LBB3_118:
	s_delay_alu instid0(SALU_CYCLE_1)
	s_or_b32 exec_lo, exec_lo, s5
.LBB3_119:
	s_delay_alu instid0(SALU_CYCLE_1)
	s_or_b32 exec_lo, exec_lo, s4
	s_waitcnt vmcnt(0)
	v_mov_b32_e32 v2, 0
	v_readfirstlane_b32 s4, v8
	v_readfirstlane_b32 s5, v9
	s_mov_b32 s12, exec_lo
	s_clause 0x1
	global_load_b64 v[10:11], v2, s[8:9] offset:40
	global_load_b128 v[4:7], v2, s[8:9]
	s_waitcnt vmcnt(1)
	v_readfirstlane_b32 s10, v10
	v_readfirstlane_b32 s11, v11
	s_delay_alu instid0(VALU_DEP_1) | instskip(NEXT) | instid1(SALU_CYCLE_1)
	s_and_b64 s[10:11], s[4:5], s[10:11]
	s_mul_i32 s13, s11, 24
	s_mul_hi_u32 s14, s10, 24
	s_mul_i32 s15, s10, 24
	s_add_i32 s14, s14, s13
	s_waitcnt vmcnt(0)
	v_add_co_u32 v8, vcc_lo, v4, s15
	v_add_co_ci_u32_e32 v9, vcc_lo, s14, v5, vcc_lo
	s_and_saveexec_b32 s13, s3
	s_cbranch_execz .LBB3_121
; %bb.120:
	v_dual_mov_b32 v10, s12 :: v_dual_mov_b32 v11, v2
	v_dual_mov_b32 v12, 2 :: v_dual_mov_b32 v13, 1
	global_store_b128 v[8:9], v[10:13], off offset:8
.LBB3_121:
	s_or_b32 exec_lo, exec_lo, s13
	s_lshl_b64 s[10:11], s[10:11], 12
	s_mov_b32 s12, 0
	v_add_co_u32 v6, vcc_lo, v6, s10
	v_add_co_ci_u32_e32 v7, vcc_lo, s11, v7, vcc_lo
	s_mov_b32 s13, s12
	s_delay_alu instid0(VALU_DEP_2)
	v_readfirstlane_b32 s10, v6
	v_add_co_u32 v6, vcc_lo, v6, v31
	s_mov_b32 s14, s12
	s_mov_b32 s15, s12
	v_and_or_b32 v0, 0xffffff1f, v0, 32
	v_dual_mov_b32 v3, v2 :: v_dual_mov_b32 v10, s12
	v_readfirstlane_b32 s11, v7
	v_add_co_ci_u32_e32 v7, vcc_lo, 0, v7, vcc_lo
	v_dual_mov_b32 v11, s13 :: v_dual_mov_b32 v12, s14
	v_mov_b32_e32 v13, s15
	s_clause 0x3
	global_store_b128 v31, v[0:3], s[10:11]
	global_store_b128 v31, v[10:13], s[10:11] offset:16
	global_store_b128 v31, v[10:13], s[10:11] offset:32
	;; [unrolled: 1-line block ×3, first 2 shown]
	s_and_saveexec_b32 s10, s3
	s_cbranch_execz .LBB3_129
; %bb.122:
	v_dual_mov_b32 v10, 0 :: v_dual_mov_b32 v11, s4
	v_mov_b32_e32 v12, s5
	s_clause 0x1
	global_load_b64 v[13:14], v10, s[8:9] offset:32 glc
	global_load_b64 v[0:1], v10, s[8:9] offset:40
	s_waitcnt vmcnt(0)
	v_readfirstlane_b32 s12, v0
	v_readfirstlane_b32 s13, v1
	s_delay_alu instid0(VALU_DEP_1) | instskip(NEXT) | instid1(SALU_CYCLE_1)
	s_and_b64 s[12:13], s[12:13], s[4:5]
	s_mul_i32 s11, s13, 24
	s_mul_hi_u32 s13, s12, 24
	s_mul_i32 s12, s12, 24
	s_add_i32 s13, s13, s11
	v_add_co_u32 v4, vcc_lo, v4, s12
	v_add_co_ci_u32_e32 v5, vcc_lo, s13, v5, vcc_lo
	s_mov_b32 s11, exec_lo
	global_store_b64 v[4:5], v[13:14], off
	s_waitcnt_vscnt null, 0x0
	global_atomic_cmpswap_b64 v[2:3], v10, v[11:14], s[8:9] offset:32 glc
	s_waitcnt vmcnt(0)
	v_cmpx_ne_u64_e64 v[2:3], v[13:14]
	s_cbranch_execz .LBB3_125
; %bb.123:
	s_mov_b32 s12, 0
.LBB3_124:                              ; =>This Inner Loop Header: Depth=1
	v_dual_mov_b32 v0, s4 :: v_dual_mov_b32 v1, s5
	s_sleep 1
	global_store_b64 v[4:5], v[2:3], off
	s_waitcnt_vscnt null, 0x0
	global_atomic_cmpswap_b64 v[0:1], v10, v[0:3], s[8:9] offset:32 glc
	s_waitcnt vmcnt(0)
	v_cmp_eq_u64_e32 vcc_lo, v[0:1], v[2:3]
	v_dual_mov_b32 v3, v1 :: v_dual_mov_b32 v2, v0
	s_or_b32 s12, vcc_lo, s12
	s_delay_alu instid0(SALU_CYCLE_1)
	s_and_not1_b32 exec_lo, exec_lo, s12
	s_cbranch_execnz .LBB3_124
.LBB3_125:
	s_or_b32 exec_lo, exec_lo, s11
	v_mov_b32_e32 v3, 0
	s_mov_b32 s12, exec_lo
	s_mov_b32 s11, exec_lo
	v_mbcnt_lo_u32_b32 v2, s12, 0
	global_load_b64 v[0:1], v3, s[8:9] offset:16
	v_cmpx_eq_u32_e32 0, v2
	s_cbranch_execz .LBB3_127
; %bb.126:
	s_bcnt1_i32_b32 s12, s12
	s_delay_alu instid0(SALU_CYCLE_1)
	v_mov_b32_e32 v2, s12
	s_waitcnt vmcnt(0)
	global_atomic_add_u64 v[0:1], v[2:3], off offset:8
.LBB3_127:
	s_or_b32 exec_lo, exec_lo, s11
	s_waitcnt vmcnt(0)
	global_load_b64 v[2:3], v[0:1], off offset:16
	s_waitcnt vmcnt(0)
	v_cmp_eq_u64_e32 vcc_lo, 0, v[2:3]
	s_cbranch_vccnz .LBB3_129
; %bb.128:
	global_load_b32 v0, v[0:1], off offset:24
	s_waitcnt vmcnt(0)
	v_dual_mov_b32 v1, 0 :: v_dual_and_b32 v4, 0xffffff, v0
	s_waitcnt_vscnt null, 0x0
	global_store_b64 v[2:3], v[0:1], off
	v_readfirstlane_b32 m0, v4
	s_sendmsg sendmsg(MSG_INTERRUPT)
.LBB3_129:
	s_or_b32 exec_lo, exec_lo, s10
	s_branch .LBB3_133
	.p2align	6
.LBB3_130:                              ;   in Loop: Header=BB3_133 Depth=1
	s_or_b32 exec_lo, exec_lo, s10
	s_delay_alu instid0(VALU_DEP_1) | instskip(NEXT) | instid1(VALU_DEP_1)
	v_readfirstlane_b32 s10, v0
	s_cmp_eq_u32 s10, 0
	s_cbranch_scc1 .LBB3_132
; %bb.131:                              ;   in Loop: Header=BB3_133 Depth=1
	s_sleep 1
	s_cbranch_execnz .LBB3_133
	s_branch .LBB3_135
	.p2align	6
.LBB3_132:
	s_branch .LBB3_135
.LBB3_133:                              ; =>This Inner Loop Header: Depth=1
	v_mov_b32_e32 v0, 1
	s_and_saveexec_b32 s10, s3
	s_cbranch_execz .LBB3_130
; %bb.134:                              ;   in Loop: Header=BB3_133 Depth=1
	global_load_b32 v0, v[8:9], off offset:20 glc
	s_waitcnt vmcnt(0)
	buffer_gl1_inv
	buffer_gl0_inv
	v_and_b32_e32 v0, 1, v0
	s_branch .LBB3_130
.LBB3_135:
	global_load_b64 v[2:3], v[6:7], off
	s_and_saveexec_b32 s10, s3
	s_cbranch_execz .LBB3_139
; %bb.136:
	v_mov_b32_e32 v8, 0
	s_clause 0x2
	global_load_b64 v[0:1], v8, s[8:9] offset:40
	global_load_b64 v[9:10], v8, s[8:9] offset:24 glc
	global_load_b64 v[6:7], v8, s[8:9]
	s_waitcnt vmcnt(2)
	v_add_co_u32 v11, vcc_lo, v0, 1
	v_add_co_ci_u32_e32 v12, vcc_lo, 0, v1, vcc_lo
	s_delay_alu instid0(VALU_DEP_2) | instskip(NEXT) | instid1(VALU_DEP_2)
	v_add_co_u32 v4, vcc_lo, v11, s4
	v_add_co_ci_u32_e32 v5, vcc_lo, s5, v12, vcc_lo
	s_delay_alu instid0(VALU_DEP_1) | instskip(SKIP_1) | instid1(VALU_DEP_1)
	v_cmp_eq_u64_e32 vcc_lo, 0, v[4:5]
	v_dual_cndmask_b32 v5, v5, v12 :: v_dual_cndmask_b32 v4, v4, v11
	v_and_b32_e32 v1, v5, v1
	s_delay_alu instid0(VALU_DEP_2) | instskip(NEXT) | instid1(VALU_DEP_2)
	v_and_b32_e32 v0, v4, v0
	v_mul_lo_u32 v1, v1, 24
	s_delay_alu instid0(VALU_DEP_2) | instskip(SKIP_1) | instid1(VALU_DEP_2)
	v_mul_hi_u32 v11, v0, 24
	v_mul_lo_u32 v0, v0, 24
	v_add_nc_u32_e32 v1, v11, v1
	s_waitcnt vmcnt(0)
	s_delay_alu instid0(VALU_DEP_2) | instskip(SKIP_1) | instid1(VALU_DEP_3)
	v_add_co_u32 v0, vcc_lo, v6, v0
	v_mov_b32_e32 v6, v9
	v_add_co_ci_u32_e32 v1, vcc_lo, v7, v1, vcc_lo
	v_mov_b32_e32 v7, v10
	global_store_b64 v[0:1], v[9:10], off
	s_waitcnt_vscnt null, 0x0
	global_atomic_cmpswap_b64 v[6:7], v8, v[4:7], s[8:9] offset:24 glc
	s_waitcnt vmcnt(0)
	v_cmp_ne_u64_e32 vcc_lo, v[6:7], v[9:10]
	s_and_b32 exec_lo, exec_lo, vcc_lo
	s_cbranch_execz .LBB3_139
; %bb.137:
	s_mov_b32 s3, 0
.LBB3_138:                              ; =>This Inner Loop Header: Depth=1
	s_sleep 1
	global_store_b64 v[0:1], v[6:7], off
	s_waitcnt_vscnt null, 0x0
	global_atomic_cmpswap_b64 v[9:10], v8, v[4:7], s[8:9] offset:24 glc
	s_waitcnt vmcnt(0)
	v_cmp_eq_u64_e32 vcc_lo, v[9:10], v[6:7]
	v_dual_mov_b32 v6, v9 :: v_dual_mov_b32 v7, v10
	s_or_b32 s3, vcc_lo, s3
	s_delay_alu instid0(SALU_CYCLE_1)
	s_and_not1_b32 exec_lo, exec_lo, s3
	s_cbranch_execnz .LBB3_138
.LBB3_139:
	s_or_b32 exec_lo, exec_lo, s10
.LBB3_140:
	v_readfirstlane_b32 s3, v33
	s_waitcnt vmcnt(0)
	v_mov_b32_e32 v0, 0
	v_mov_b32_e32 v1, 0
	s_delay_alu instid0(VALU_DEP_3) | instskip(NEXT) | instid1(VALU_DEP_1)
	v_cmp_eq_u32_e64 s3, s3, v33
	s_and_saveexec_b32 s4, s3
	s_cbranch_execz .LBB3_146
; %bb.141:
	v_mov_b32_e32 v4, 0
	s_mov_b32 s5, exec_lo
	global_load_b64 v[7:8], v4, s[8:9] offset:24 glc
	s_waitcnt vmcnt(0)
	buffer_gl1_inv
	buffer_gl0_inv
	s_clause 0x1
	global_load_b64 v[0:1], v4, s[8:9] offset:40
	global_load_b64 v[5:6], v4, s[8:9]
	s_waitcnt vmcnt(1)
	v_and_b32_e32 v1, v1, v8
	v_and_b32_e32 v0, v0, v7
	s_delay_alu instid0(VALU_DEP_2) | instskip(NEXT) | instid1(VALU_DEP_2)
	v_mul_lo_u32 v1, v1, 24
	v_mul_hi_u32 v9, v0, 24
	v_mul_lo_u32 v0, v0, 24
	s_delay_alu instid0(VALU_DEP_2) | instskip(SKIP_1) | instid1(VALU_DEP_2)
	v_add_nc_u32_e32 v1, v9, v1
	s_waitcnt vmcnt(0)
	v_add_co_u32 v0, vcc_lo, v5, v0
	s_delay_alu instid0(VALU_DEP_2)
	v_add_co_ci_u32_e32 v1, vcc_lo, v6, v1, vcc_lo
	global_load_b64 v[5:6], v[0:1], off glc
	s_waitcnt vmcnt(0)
	global_atomic_cmpswap_b64 v[0:1], v4, v[5:8], s[8:9] offset:24 glc
	s_waitcnt vmcnt(0)
	buffer_gl1_inv
	buffer_gl0_inv
	v_cmpx_ne_u64_e64 v[0:1], v[7:8]
	s_cbranch_execz .LBB3_145
; %bb.142:
	s_mov_b32 s10, 0
	.p2align	6
.LBB3_143:                              ; =>This Inner Loop Header: Depth=1
	s_sleep 1
	s_clause 0x1
	global_load_b64 v[5:6], v4, s[8:9] offset:40
	global_load_b64 v[9:10], v4, s[8:9]
	v_dual_mov_b32 v8, v1 :: v_dual_mov_b32 v7, v0
	s_waitcnt vmcnt(1)
	s_delay_alu instid0(VALU_DEP_1) | instskip(SKIP_1) | instid1(VALU_DEP_1)
	v_and_b32_e32 v5, v5, v7
	s_waitcnt vmcnt(0)
	v_mad_u64_u32 v[0:1], null, v5, 24, v[9:10]
	v_and_b32_e32 v9, v6, v8
	s_delay_alu instid0(VALU_DEP_1) | instskip(NEXT) | instid1(VALU_DEP_1)
	v_mad_u64_u32 v[5:6], null, v9, 24, v[1:2]
	v_mov_b32_e32 v1, v5
	global_load_b64 v[5:6], v[0:1], off glc
	s_waitcnt vmcnt(0)
	global_atomic_cmpswap_b64 v[0:1], v4, v[5:8], s[8:9] offset:24 glc
	s_waitcnt vmcnt(0)
	buffer_gl1_inv
	buffer_gl0_inv
	v_cmp_eq_u64_e32 vcc_lo, v[0:1], v[7:8]
	s_or_b32 s10, vcc_lo, s10
	s_delay_alu instid0(SALU_CYCLE_1)
	s_and_not1_b32 exec_lo, exec_lo, s10
	s_cbranch_execnz .LBB3_143
; %bb.144:
	s_or_b32 exec_lo, exec_lo, s10
.LBB3_145:
	s_delay_alu instid0(SALU_CYCLE_1)
	s_or_b32 exec_lo, exec_lo, s5
.LBB3_146:
	s_delay_alu instid0(SALU_CYCLE_1)
	s_or_b32 exec_lo, exec_lo, s4
	v_mov_b32_e32 v5, 0
	v_readfirstlane_b32 s4, v0
	v_readfirstlane_b32 s5, v1
	s_mov_b32 s12, exec_lo
	s_clause 0x1
	global_load_b64 v[10:11], v5, s[8:9] offset:40
	global_load_b128 v[6:9], v5, s[8:9]
	s_waitcnt vmcnt(1)
	v_readfirstlane_b32 s10, v10
	v_readfirstlane_b32 s11, v11
	s_delay_alu instid0(VALU_DEP_1) | instskip(NEXT) | instid1(SALU_CYCLE_1)
	s_and_b64 s[10:11], s[4:5], s[10:11]
	s_mul_i32 s13, s11, 24
	s_mul_hi_u32 s14, s10, 24
	s_mul_i32 s15, s10, 24
	s_add_i32 s14, s14, s13
	s_waitcnt vmcnt(0)
	v_add_co_u32 v10, vcc_lo, v6, s15
	v_add_co_ci_u32_e32 v11, vcc_lo, s14, v7, vcc_lo
	s_and_saveexec_b32 s13, s3
	s_cbranch_execz .LBB3_148
; %bb.147:
	v_dual_mov_b32 v4, s12 :: v_dual_mov_b32 v15, 1
	v_dual_mov_b32 v14, 2 :: v_dual_mov_b32 v13, v5
	s_delay_alu instid0(VALU_DEP_2)
	v_mov_b32_e32 v12, v4
	global_store_b128 v[10:11], v[12:15], off offset:8
.LBB3_148:
	s_or_b32 exec_lo, exec_lo, s13
	s_lshl_b64 s[10:11], s[10:11], 12
	s_mov_b32 s12, 0
	v_add_co_u32 v0, vcc_lo, v8, s10
	v_add_co_ci_u32_e32 v1, vcc_lo, s11, v9, vcc_lo
	s_add_i32 s10, s23, -1
	s_delay_alu instid0(VALU_DEP_2)
	v_add_co_u32 v8, vcc_lo, v0, v31
	s_mov_b32 s13, s12
	s_mov_b32 s14, s12
	;; [unrolled: 1-line block ×3, first 2 shown]
	v_and_or_b32 v2, 0xffffff1f, v2, 32
	v_mov_b32_e32 v4, s10
	v_readfirstlane_b32 s10, v0
	v_readfirstlane_b32 s11, v1
	v_dual_mov_b32 v12, s12 :: v_dual_mov_b32 v15, s15
	v_add_co_ci_u32_e32 v9, vcc_lo, 0, v1, vcc_lo
	v_dual_mov_b32 v13, s13 :: v_dual_mov_b32 v14, s14
	s_clause 0x3
	global_store_b128 v31, v[2:5], s[10:11]
	global_store_b128 v31, v[12:15], s[10:11] offset:16
	global_store_b128 v31, v[12:15], s[10:11] offset:32
	;; [unrolled: 1-line block ×3, first 2 shown]
	s_and_saveexec_b32 s10, s3
	s_cbranch_execz .LBB3_156
; %bb.149:
	v_dual_mov_b32 v12, 0 :: v_dual_mov_b32 v13, s4
	v_mov_b32_e32 v14, s5
	s_clause 0x1
	global_load_b64 v[15:16], v12, s[8:9] offset:32 glc
	global_load_b64 v[0:1], v12, s[8:9] offset:40
	s_waitcnt vmcnt(0)
	v_readfirstlane_b32 s12, v0
	v_readfirstlane_b32 s13, v1
	s_delay_alu instid0(VALU_DEP_1) | instskip(NEXT) | instid1(SALU_CYCLE_1)
	s_and_b64 s[12:13], s[12:13], s[4:5]
	s_mul_i32 s11, s13, 24
	s_mul_hi_u32 s13, s12, 24
	s_mul_i32 s12, s12, 24
	s_add_i32 s13, s13, s11
	v_add_co_u32 v4, vcc_lo, v6, s12
	v_add_co_ci_u32_e32 v5, vcc_lo, s13, v7, vcc_lo
	s_mov_b32 s11, exec_lo
	global_store_b64 v[4:5], v[15:16], off
	s_waitcnt_vscnt null, 0x0
	global_atomic_cmpswap_b64 v[2:3], v12, v[13:16], s[8:9] offset:32 glc
	s_waitcnt vmcnt(0)
	v_cmpx_ne_u64_e64 v[2:3], v[15:16]
	s_cbranch_execz .LBB3_152
; %bb.150:
	s_mov_b32 s12, 0
.LBB3_151:                              ; =>This Inner Loop Header: Depth=1
	v_dual_mov_b32 v0, s4 :: v_dual_mov_b32 v1, s5
	s_sleep 1
	global_store_b64 v[4:5], v[2:3], off
	s_waitcnt_vscnt null, 0x0
	global_atomic_cmpswap_b64 v[0:1], v12, v[0:3], s[8:9] offset:32 glc
	s_waitcnt vmcnt(0)
	v_cmp_eq_u64_e32 vcc_lo, v[0:1], v[2:3]
	v_dual_mov_b32 v3, v1 :: v_dual_mov_b32 v2, v0
	s_or_b32 s12, vcc_lo, s12
	s_delay_alu instid0(SALU_CYCLE_1)
	s_and_not1_b32 exec_lo, exec_lo, s12
	s_cbranch_execnz .LBB3_151
.LBB3_152:
	s_or_b32 exec_lo, exec_lo, s11
	v_mov_b32_e32 v3, 0
	s_mov_b32 s12, exec_lo
	s_mov_b32 s11, exec_lo
	v_mbcnt_lo_u32_b32 v2, s12, 0
	global_load_b64 v[0:1], v3, s[8:9] offset:16
	v_cmpx_eq_u32_e32 0, v2
	s_cbranch_execz .LBB3_154
; %bb.153:
	s_bcnt1_i32_b32 s12, s12
	s_delay_alu instid0(SALU_CYCLE_1)
	v_mov_b32_e32 v2, s12
	s_waitcnt vmcnt(0)
	global_atomic_add_u64 v[0:1], v[2:3], off offset:8
.LBB3_154:
	s_or_b32 exec_lo, exec_lo, s11
	s_waitcnt vmcnt(0)
	global_load_b64 v[2:3], v[0:1], off offset:16
	s_waitcnt vmcnt(0)
	v_cmp_eq_u64_e32 vcc_lo, 0, v[2:3]
	s_cbranch_vccnz .LBB3_156
; %bb.155:
	global_load_b32 v0, v[0:1], off offset:24
	s_waitcnt vmcnt(0)
	v_dual_mov_b32 v1, 0 :: v_dual_and_b32 v4, 0xffffff, v0
	s_waitcnt_vscnt null, 0x0
	global_store_b64 v[2:3], v[0:1], off
	v_readfirstlane_b32 m0, v4
	s_sendmsg sendmsg(MSG_INTERRUPT)
.LBB3_156:
	s_or_b32 exec_lo, exec_lo, s10
	s_branch .LBB3_160
	.p2align	6
.LBB3_157:                              ;   in Loop: Header=BB3_160 Depth=1
	s_or_b32 exec_lo, exec_lo, s10
	s_delay_alu instid0(VALU_DEP_1) | instskip(NEXT) | instid1(VALU_DEP_1)
	v_readfirstlane_b32 s10, v0
	s_cmp_eq_u32 s10, 0
	s_cbranch_scc1 .LBB3_159
; %bb.158:                              ;   in Loop: Header=BB3_160 Depth=1
	s_sleep 1
	s_cbranch_execnz .LBB3_160
	s_branch .LBB3_162
	.p2align	6
.LBB3_159:
	s_branch .LBB3_162
.LBB3_160:                              ; =>This Inner Loop Header: Depth=1
	v_mov_b32_e32 v0, 1
	s_and_saveexec_b32 s10, s3
	s_cbranch_execz .LBB3_157
; %bb.161:                              ;   in Loop: Header=BB3_160 Depth=1
	global_load_b32 v0, v[10:11], off offset:20 glc
	s_waitcnt vmcnt(0)
	buffer_gl1_inv
	buffer_gl0_inv
	v_and_b32_e32 v0, 1, v0
	s_branch .LBB3_157
.LBB3_162:
	global_load_b64 v[0:1], v[8:9], off
	s_and_saveexec_b32 s10, s3
	s_cbranch_execz .LBB3_166
; %bb.163:
	v_mov_b32_e32 v8, 0
	s_clause 0x2
	global_load_b64 v[4:5], v8, s[8:9] offset:40
	global_load_b64 v[9:10], v8, s[8:9] offset:24 glc
	global_load_b64 v[6:7], v8, s[8:9]
	s_waitcnt vmcnt(2)
	v_add_co_u32 v11, vcc_lo, v4, 1
	v_add_co_ci_u32_e32 v12, vcc_lo, 0, v5, vcc_lo
	s_delay_alu instid0(VALU_DEP_2) | instskip(NEXT) | instid1(VALU_DEP_2)
	v_add_co_u32 v2, vcc_lo, v11, s4
	v_add_co_ci_u32_e32 v3, vcc_lo, s5, v12, vcc_lo
	s_delay_alu instid0(VALU_DEP_1) | instskip(SKIP_1) | instid1(VALU_DEP_1)
	v_cmp_eq_u64_e32 vcc_lo, 0, v[2:3]
	v_dual_cndmask_b32 v3, v3, v12 :: v_dual_cndmask_b32 v2, v2, v11
	v_and_b32_e32 v5, v3, v5
	s_delay_alu instid0(VALU_DEP_2) | instskip(NEXT) | instid1(VALU_DEP_2)
	v_and_b32_e32 v4, v2, v4
	v_mul_lo_u32 v5, v5, 24
	s_delay_alu instid0(VALU_DEP_2) | instskip(SKIP_1) | instid1(VALU_DEP_2)
	v_mul_hi_u32 v11, v4, 24
	v_mul_lo_u32 v4, v4, 24
	v_add_nc_u32_e32 v5, v11, v5
	s_waitcnt vmcnt(0)
	s_delay_alu instid0(VALU_DEP_2) | instskip(SKIP_1) | instid1(VALU_DEP_3)
	v_add_co_u32 v6, vcc_lo, v6, v4
	v_mov_b32_e32 v4, v9
	v_add_co_ci_u32_e32 v7, vcc_lo, v7, v5, vcc_lo
	v_mov_b32_e32 v5, v10
	global_store_b64 v[6:7], v[9:10], off
	s_waitcnt_vscnt null, 0x0
	global_atomic_cmpswap_b64 v[4:5], v8, v[2:5], s[8:9] offset:24 glc
	s_waitcnt vmcnt(0)
	v_cmp_ne_u64_e32 vcc_lo, v[4:5], v[9:10]
	s_and_b32 exec_lo, exec_lo, vcc_lo
	s_cbranch_execz .LBB3_166
; %bb.164:
	s_mov_b32 s3, 0
.LBB3_165:                              ; =>This Inner Loop Header: Depth=1
	s_sleep 1
	global_store_b64 v[6:7], v[4:5], off
	s_waitcnt_vscnt null, 0x0
	global_atomic_cmpswap_b64 v[9:10], v8, v[2:5], s[8:9] offset:24 glc
	s_waitcnt vmcnt(0)
	v_cmp_eq_u64_e32 vcc_lo, v[9:10], v[4:5]
	v_dual_mov_b32 v4, v9 :: v_dual_mov_b32 v5, v10
	s_or_b32 s3, vcc_lo, s3
	s_delay_alu instid0(SALU_CYCLE_1)
	s_and_not1_b32 exec_lo, exec_lo, s3
	s_cbranch_execnz .LBB3_165
.LBB3_166:
	s_or_b32 exec_lo, exec_lo, s10
	v_readfirstlane_b32 s3, v33
	v_mov_b32_e32 v8, 0
	v_mov_b32_e32 v9, 0
	s_delay_alu instid0(VALU_DEP_3) | instskip(NEXT) | instid1(VALU_DEP_1)
	v_cmp_eq_u32_e64 s3, s3, v33
	s_and_saveexec_b32 s4, s3
	s_cbranch_execz .LBB3_172
; %bb.167:
	v_mov_b32_e32 v2, 0
	s_mov_b32 s5, exec_lo
	global_load_b64 v[5:6], v2, s[8:9] offset:24 glc
	s_waitcnt vmcnt(0)
	buffer_gl1_inv
	buffer_gl0_inv
	s_clause 0x1
	global_load_b64 v[3:4], v2, s[8:9] offset:40
	global_load_b64 v[7:8], v2, s[8:9]
	s_waitcnt vmcnt(1)
	v_and_b32_e32 v3, v3, v5
	v_and_b32_e32 v4, v4, v6
	s_delay_alu instid0(VALU_DEP_2) | instskip(NEXT) | instid1(VALU_DEP_2)
	v_mul_hi_u32 v9, v3, 24
	v_mul_lo_u32 v4, v4, 24
	v_mul_lo_u32 v3, v3, 24
	s_delay_alu instid0(VALU_DEP_2) | instskip(SKIP_1) | instid1(VALU_DEP_2)
	v_add_nc_u32_e32 v4, v9, v4
	s_waitcnt vmcnt(0)
	v_add_co_u32 v3, vcc_lo, v7, v3
	s_delay_alu instid0(VALU_DEP_2)
	v_add_co_ci_u32_e32 v4, vcc_lo, v8, v4, vcc_lo
	global_load_b64 v[3:4], v[3:4], off glc
	s_waitcnt vmcnt(0)
	global_atomic_cmpswap_b64 v[8:9], v2, v[3:6], s[8:9] offset:24 glc
	s_waitcnt vmcnt(0)
	buffer_gl1_inv
	buffer_gl0_inv
	v_cmpx_ne_u64_e64 v[8:9], v[5:6]
	s_cbranch_execz .LBB3_171
; %bb.168:
	s_mov_b32 s10, 0
	.p2align	6
.LBB3_169:                              ; =>This Inner Loop Header: Depth=1
	s_sleep 1
	s_clause 0x1
	global_load_b64 v[3:4], v2, s[8:9] offset:40
	global_load_b64 v[10:11], v2, s[8:9]
	v_dual_mov_b32 v5, v8 :: v_dual_mov_b32 v6, v9
	s_waitcnt vmcnt(1)
	s_delay_alu instid0(VALU_DEP_1) | instskip(NEXT) | instid1(VALU_DEP_2)
	v_and_b32_e32 v3, v3, v5
	v_and_b32_e32 v4, v4, v6
	s_waitcnt vmcnt(0)
	s_delay_alu instid0(VALU_DEP_2) | instskip(NEXT) | instid1(VALU_DEP_1)
	v_mad_u64_u32 v[7:8], null, v3, 24, v[10:11]
	v_mov_b32_e32 v3, v8
	s_delay_alu instid0(VALU_DEP_1)
	v_mad_u64_u32 v[8:9], null, v4, 24, v[3:4]
	global_load_b64 v[3:4], v[7:8], off glc
	s_waitcnt vmcnt(0)
	global_atomic_cmpswap_b64 v[8:9], v2, v[3:6], s[8:9] offset:24 glc
	s_waitcnt vmcnt(0)
	buffer_gl1_inv
	buffer_gl0_inv
	v_cmp_eq_u64_e32 vcc_lo, v[8:9], v[5:6]
	s_or_b32 s10, vcc_lo, s10
	s_delay_alu instid0(SALU_CYCLE_1)
	s_and_not1_b32 exec_lo, exec_lo, s10
	s_cbranch_execnz .LBB3_169
; %bb.170:
	s_or_b32 exec_lo, exec_lo, s10
.LBB3_171:
	s_delay_alu instid0(SALU_CYCLE_1)
	s_or_b32 exec_lo, exec_lo, s5
.LBB3_172:
	s_delay_alu instid0(SALU_CYCLE_1)
	s_or_b32 exec_lo, exec_lo, s4
	v_mov_b32_e32 v3, 0
	v_readfirstlane_b32 s4, v8
	v_readfirstlane_b32 s5, v9
	s_mov_b32 s12, exec_lo
	s_clause 0x1
	global_load_b64 v[10:11], v3, s[8:9] offset:40
	global_load_b128 v[4:7], v3, s[8:9]
	s_waitcnt vmcnt(1)
	v_readfirstlane_b32 s10, v10
	v_readfirstlane_b32 s11, v11
	s_delay_alu instid0(VALU_DEP_1) | instskip(NEXT) | instid1(SALU_CYCLE_1)
	s_and_b64 s[10:11], s[4:5], s[10:11]
	s_mul_i32 s13, s11, 24
	s_mul_hi_u32 s14, s10, 24
	s_mul_i32 s15, s10, 24
	s_add_i32 s14, s14, s13
	s_waitcnt vmcnt(0)
	v_add_co_u32 v8, vcc_lo, v4, s15
	v_add_co_ci_u32_e32 v9, vcc_lo, s14, v5, vcc_lo
	s_and_saveexec_b32 s13, s3
	s_cbranch_execz .LBB3_174
; %bb.173:
	v_dual_mov_b32 v2, s12 :: v_dual_mov_b32 v13, 1
	v_dual_mov_b32 v12, 2 :: v_dual_mov_b32 v11, v3
	s_delay_alu instid0(VALU_DEP_2)
	v_mov_b32_e32 v10, v2
	global_store_b128 v[8:9], v[10:13], off offset:8
.LBB3_174:
	s_or_b32 exec_lo, exec_lo, s13
	s_lshl_b64 s[10:11], s[10:11], 12
	s_mov_b32 s12, 0
	v_add_co_u32 v6, vcc_lo, v6, s10
	v_add_co_ci_u32_e32 v7, vcc_lo, s11, v7, vcc_lo
	s_mov_b32 s13, s12
	s_mov_b32 s14, s12
	;; [unrolled: 1-line block ×3, first 2 shown]
	v_cndmask_b32_e64 v2, -1, v34, s2
	v_and_or_b32 v0, 0xffffff1d, v0, 34
	v_readfirstlane_b32 s10, v6
	v_readfirstlane_b32 s11, v7
	v_dual_mov_b32 v10, s12 :: v_dual_mov_b32 v11, s13
	v_dual_mov_b32 v12, s14 :: v_dual_mov_b32 v13, s15
	s_clause 0x3
	global_store_b128 v31, v[0:3], s[10:11]
	global_store_b128 v31, v[10:13], s[10:11] offset:16
	global_store_b128 v31, v[10:13], s[10:11] offset:32
	;; [unrolled: 1-line block ×3, first 2 shown]
	s_and_saveexec_b32 s2, s3
	s_cbranch_execz .LBB3_182
; %bb.175:
	v_dual_mov_b32 v6, 0 :: v_dual_mov_b32 v11, s5
	v_mov_b32_e32 v10, s4
	s_clause 0x1
	global_load_b64 v[12:13], v6, s[8:9] offset:32 glc
	global_load_b64 v[0:1], v6, s[8:9] offset:40
	s_waitcnt vmcnt(0)
	v_readfirstlane_b32 s10, v0
	v_readfirstlane_b32 s11, v1
	s_delay_alu instid0(VALU_DEP_1) | instskip(NEXT) | instid1(SALU_CYCLE_1)
	s_and_b64 s[10:11], s[10:11], s[4:5]
	s_mul_i32 s11, s11, 24
	s_mul_hi_u32 s12, s10, 24
	s_mul_i32 s10, s10, 24
	s_add_i32 s12, s12, s11
	v_add_co_u32 v4, vcc_lo, v4, s10
	v_add_co_ci_u32_e32 v5, vcc_lo, s12, v5, vcc_lo
	s_mov_b32 s10, exec_lo
	global_store_b64 v[4:5], v[12:13], off
	s_waitcnt_vscnt null, 0x0
	global_atomic_cmpswap_b64 v[2:3], v6, v[10:13], s[8:9] offset:32 glc
	s_waitcnt vmcnt(0)
	v_cmpx_ne_u64_e64 v[2:3], v[12:13]
	s_cbranch_execz .LBB3_178
; %bb.176:
	s_mov_b32 s11, 0
.LBB3_177:                              ; =>This Inner Loop Header: Depth=1
	v_dual_mov_b32 v0, s4 :: v_dual_mov_b32 v1, s5
	s_sleep 1
	global_store_b64 v[4:5], v[2:3], off
	s_waitcnt_vscnt null, 0x0
	global_atomic_cmpswap_b64 v[0:1], v6, v[0:3], s[8:9] offset:32 glc
	s_waitcnt vmcnt(0)
	v_cmp_eq_u64_e32 vcc_lo, v[0:1], v[2:3]
	v_dual_mov_b32 v3, v1 :: v_dual_mov_b32 v2, v0
	s_or_b32 s11, vcc_lo, s11
	s_delay_alu instid0(SALU_CYCLE_1)
	s_and_not1_b32 exec_lo, exec_lo, s11
	s_cbranch_execnz .LBB3_177
.LBB3_178:
	s_or_b32 exec_lo, exec_lo, s10
	v_mov_b32_e32 v3, 0
	s_mov_b32 s11, exec_lo
	s_mov_b32 s10, exec_lo
	v_mbcnt_lo_u32_b32 v2, s11, 0
	global_load_b64 v[0:1], v3, s[8:9] offset:16
	v_cmpx_eq_u32_e32 0, v2
	s_cbranch_execz .LBB3_180
; %bb.179:
	s_bcnt1_i32_b32 s11, s11
	s_delay_alu instid0(SALU_CYCLE_1)
	v_mov_b32_e32 v2, s11
	s_waitcnt vmcnt(0)
	global_atomic_add_u64 v[0:1], v[2:3], off offset:8
.LBB3_180:
	s_or_b32 exec_lo, exec_lo, s10
	s_waitcnt vmcnt(0)
	global_load_b64 v[2:3], v[0:1], off offset:16
	s_waitcnt vmcnt(0)
	v_cmp_eq_u64_e32 vcc_lo, 0, v[2:3]
	s_cbranch_vccnz .LBB3_182
; %bb.181:
	global_load_b32 v0, v[0:1], off offset:24
	s_waitcnt vmcnt(0)
	v_dual_mov_b32 v1, 0 :: v_dual_and_b32 v4, 0xffffff, v0
	s_waitcnt_vscnt null, 0x0
	global_store_b64 v[2:3], v[0:1], off
	v_readfirstlane_b32 m0, v4
	s_sendmsg sendmsg(MSG_INTERRUPT)
.LBB3_182:
	s_or_b32 exec_lo, exec_lo, s2
	s_branch .LBB3_186
	.p2align	6
.LBB3_183:                              ;   in Loop: Header=BB3_186 Depth=1
	s_or_b32 exec_lo, exec_lo, s2
	s_delay_alu instid0(VALU_DEP_1) | instskip(NEXT) | instid1(VALU_DEP_1)
	v_readfirstlane_b32 s2, v0
	s_cmp_eq_u32 s2, 0
	s_cbranch_scc1 .LBB3_185
; %bb.184:                              ;   in Loop: Header=BB3_186 Depth=1
	s_sleep 1
	s_cbranch_execnz .LBB3_186
	s_branch .LBB3_188
	.p2align	6
.LBB3_185:
	s_branch .LBB3_188
.LBB3_186:                              ; =>This Inner Loop Header: Depth=1
	v_mov_b32_e32 v0, 1
	s_and_saveexec_b32 s2, s3
	s_cbranch_execz .LBB3_183
; %bb.187:                              ;   in Loop: Header=BB3_186 Depth=1
	global_load_b32 v0, v[8:9], off offset:20 glc
	s_waitcnt vmcnt(0)
	buffer_gl1_inv
	buffer_gl0_inv
	v_and_b32_e32 v0, 1, v0
	s_branch .LBB3_183
.LBB3_188:
	s_and_saveexec_b32 s2, s3
	s_cbranch_execz .LBB3_192
; %bb.189:
	v_mov_b32_e32 v6, 0
	s_clause 0x2
	global_load_b64 v[2:3], v6, s[8:9] offset:40
	global_load_b64 v[7:8], v6, s[8:9] offset:24 glc
	global_load_b64 v[4:5], v6, s[8:9]
	s_waitcnt vmcnt(2)
	v_add_co_u32 v9, vcc_lo, v2, 1
	v_add_co_ci_u32_e32 v10, vcc_lo, 0, v3, vcc_lo
	s_delay_alu instid0(VALU_DEP_2) | instskip(NEXT) | instid1(VALU_DEP_2)
	v_add_co_u32 v0, vcc_lo, v9, s4
	v_add_co_ci_u32_e32 v1, vcc_lo, s5, v10, vcc_lo
	s_delay_alu instid0(VALU_DEP_1) | instskip(SKIP_1) | instid1(VALU_DEP_1)
	v_cmp_eq_u64_e32 vcc_lo, 0, v[0:1]
	v_dual_cndmask_b32 v1, v1, v10 :: v_dual_cndmask_b32 v0, v0, v9
	v_and_b32_e32 v3, v1, v3
	s_delay_alu instid0(VALU_DEP_2) | instskip(NEXT) | instid1(VALU_DEP_2)
	v_and_b32_e32 v2, v0, v2
	v_mul_lo_u32 v3, v3, 24
	s_delay_alu instid0(VALU_DEP_2) | instskip(SKIP_1) | instid1(VALU_DEP_2)
	v_mul_hi_u32 v9, v2, 24
	v_mul_lo_u32 v2, v2, 24
	v_add_nc_u32_e32 v3, v9, v3
	s_waitcnt vmcnt(0)
	s_delay_alu instid0(VALU_DEP_2) | instskip(SKIP_1) | instid1(VALU_DEP_3)
	v_add_co_u32 v4, vcc_lo, v4, v2
	v_mov_b32_e32 v2, v7
	v_add_co_ci_u32_e32 v5, vcc_lo, v5, v3, vcc_lo
	v_mov_b32_e32 v3, v8
	global_store_b64 v[4:5], v[7:8], off
	s_waitcnt_vscnt null, 0x0
	global_atomic_cmpswap_b64 v[2:3], v6, v[0:3], s[8:9] offset:24 glc
	s_waitcnt vmcnt(0)
	v_cmp_ne_u64_e32 vcc_lo, v[2:3], v[7:8]
	s_and_b32 exec_lo, exec_lo, vcc_lo
	s_cbranch_execz .LBB3_192
; %bb.190:
	s_mov_b32 s3, 0
.LBB3_191:                              ; =>This Inner Loop Header: Depth=1
	s_sleep 1
	global_store_b64 v[4:5], v[2:3], off
	s_waitcnt_vscnt null, 0x0
	global_atomic_cmpswap_b64 v[7:8], v6, v[0:3], s[8:9] offset:24 glc
	s_waitcnt vmcnt(0)
	v_cmp_eq_u64_e32 vcc_lo, v[7:8], v[2:3]
	v_dual_mov_b32 v2, v7 :: v_dual_mov_b32 v3, v8
	s_or_b32 s3, vcc_lo, s3
	s_delay_alu instid0(SALU_CYCLE_1)
	s_and_not1_b32 exec_lo, exec_lo, s3
	s_cbranch_execnz .LBB3_191
.LBB3_192:
	s_or_b32 exec_lo, exec_lo, s2
	v_cvt_f32_u32_e32 v0, s20
	v_mov_b32_e32 v6, 0
	v_readfirstlane_b32 s2, v33
	s_sub_i32 s4, 0, s20
	v_mov_b32_e32 v7, 0
	v_rcp_iflag_f32_e32 v0, v0
	s_delay_alu instid0(VALU_DEP_2) | instskip(SKIP_2) | instid1(VALU_DEP_1)
	v_cmp_eq_u32_e64 s2, s2, v33
	s_waitcnt_depctr 0xfff
	v_mul_f32_e32 v0, 0x4f7ffffe, v0
	v_cvt_u32_f32_e32 v0, v0
	s_delay_alu instid0(VALU_DEP_1) | instskip(NEXT) | instid1(VALU_DEP_1)
	v_readfirstlane_b32 s3, v0
	s_mul_i32 s4, s4, s3
	s_delay_alu instid0(SALU_CYCLE_1)
	s_mul_hi_u32 s12, s3, s4
	s_and_saveexec_b32 s4, s2
	s_cbranch_execz .LBB3_198
; %bb.193:
	v_mov_b32_e32 v0, 0
	s_mov_b32 s5, exec_lo
	global_load_b64 v[3:4], v0, s[8:9] offset:24 glc
	s_waitcnt vmcnt(0)
	buffer_gl1_inv
	buffer_gl0_inv
	s_clause 0x1
	global_load_b64 v[1:2], v0, s[8:9] offset:40
	global_load_b64 v[5:6], v0, s[8:9]
	s_waitcnt vmcnt(1)
	v_and_b32_e32 v1, v1, v3
	v_and_b32_e32 v2, v2, v4
	s_delay_alu instid0(VALU_DEP_2) | instskip(NEXT) | instid1(VALU_DEP_2)
	v_mul_hi_u32 v7, v1, 24
	v_mul_lo_u32 v2, v2, 24
	v_mul_lo_u32 v1, v1, 24
	s_delay_alu instid0(VALU_DEP_2) | instskip(SKIP_1) | instid1(VALU_DEP_2)
	v_add_nc_u32_e32 v2, v7, v2
	s_waitcnt vmcnt(0)
	v_add_co_u32 v1, vcc_lo, v5, v1
	s_delay_alu instid0(VALU_DEP_2)
	v_add_co_ci_u32_e32 v2, vcc_lo, v6, v2, vcc_lo
	global_load_b64 v[1:2], v[1:2], off glc
	s_waitcnt vmcnt(0)
	global_atomic_cmpswap_b64 v[6:7], v0, v[1:4], s[8:9] offset:24 glc
	s_waitcnt vmcnt(0)
	buffer_gl1_inv
	buffer_gl0_inv
	v_cmpx_ne_u64_e64 v[6:7], v[3:4]
	s_cbranch_execz .LBB3_197
; %bb.194:
	s_mov_b32 s10, 0
	.p2align	6
.LBB3_195:                              ; =>This Inner Loop Header: Depth=1
	s_sleep 1
	s_clause 0x1
	global_load_b64 v[1:2], v0, s[8:9] offset:40
	global_load_b64 v[8:9], v0, s[8:9]
	v_dual_mov_b32 v3, v6 :: v_dual_mov_b32 v4, v7
	s_waitcnt vmcnt(1)
	s_delay_alu instid0(VALU_DEP_1) | instskip(NEXT) | instid1(VALU_DEP_2)
	v_and_b32_e32 v1, v1, v3
	v_and_b32_e32 v2, v2, v4
	s_waitcnt vmcnt(0)
	s_delay_alu instid0(VALU_DEP_2) | instskip(NEXT) | instid1(VALU_DEP_1)
	v_mad_u64_u32 v[5:6], null, v1, 24, v[8:9]
	v_mov_b32_e32 v1, v6
	s_delay_alu instid0(VALU_DEP_1)
	v_mad_u64_u32 v[6:7], null, v2, 24, v[1:2]
	global_load_b64 v[1:2], v[5:6], off glc
	s_waitcnt vmcnt(0)
	global_atomic_cmpswap_b64 v[6:7], v0, v[1:4], s[8:9] offset:24 glc
	s_waitcnt vmcnt(0)
	buffer_gl1_inv
	buffer_gl0_inv
	v_cmp_eq_u64_e32 vcc_lo, v[6:7], v[3:4]
	s_or_b32 s10, vcc_lo, s10
	s_delay_alu instid0(SALU_CYCLE_1)
	s_and_not1_b32 exec_lo, exec_lo, s10
	s_cbranch_execnz .LBB3_195
; %bb.196:
	s_or_b32 exec_lo, exec_lo, s10
.LBB3_197:
	s_delay_alu instid0(SALU_CYCLE_1)
	s_or_b32 exec_lo, exec_lo, s5
.LBB3_198:
	s_delay_alu instid0(SALU_CYCLE_1)
	s_or_b32 exec_lo, exec_lo, s4
	v_mov_b32_e32 v5, 0
	v_readfirstlane_b32 s4, v6
	v_readfirstlane_b32 s5, v7
	s_mov_b32 s13, exec_lo
	s_add_i32 s3, s3, s12
	s_clause 0x1
	global_load_b64 v[8:9], v5, s[8:9] offset:40
	global_load_b128 v[0:3], v5, s[8:9]
	s_waitcnt vmcnt(1)
	v_readfirstlane_b32 s10, v8
	v_readfirstlane_b32 s11, v9
	s_delay_alu instid0(VALU_DEP_1) | instskip(NEXT) | instid1(SALU_CYCLE_1)
	s_and_b64 s[10:11], s[4:5], s[10:11]
	s_mul_i32 s14, s11, 24
	s_mul_hi_u32 s15, s10, 24
	s_mul_i32 s16, s10, 24
	s_add_i32 s15, s15, s14
	s_waitcnt vmcnt(0)
	v_add_co_u32 v8, vcc_lo, v0, s16
	v_add_co_ci_u32_e32 v9, vcc_lo, s15, v1, vcc_lo
	s_and_saveexec_b32 s12, s2
	s_cbranch_execz .LBB3_200
; %bb.199:
	v_dual_mov_b32 v4, s13 :: v_dual_mov_b32 v7, 1
	v_mov_b32_e32 v6, 2
	global_store_b128 v[8:9], v[4:7], off offset:8
.LBB3_200:
	s_or_b32 exec_lo, exec_lo, s12
	s_lshl_b64 s[10:11], s[10:11], 12
	s_mov_b32 s12, 0
	v_add_co_u32 v2, vcc_lo, v2, s10
	v_add_co_ci_u32_e32 v3, vcc_lo, s11, v3, vcc_lo
	s_mov_b32 s13, s12
	s_delay_alu instid0(VALU_DEP_2)
	v_add_co_u32 v10, vcc_lo, v2, v31
	s_mov_b32 s14, s12
	s_mov_b32 s15, s12
	v_dual_mov_b32 v4, 33 :: v_dual_mov_b32 v7, v5
	v_mov_b32_e32 v6, v5
	v_readfirstlane_b32 s10, v2
	v_readfirstlane_b32 s11, v3
	v_dual_mov_b32 v12, s12 :: v_dual_mov_b32 v15, s15
	v_add_co_ci_u32_e32 v11, vcc_lo, 0, v3, vcc_lo
	v_dual_mov_b32 v13, s13 :: v_dual_mov_b32 v14, s14
	s_mul_hi_u32 s18, s23, s3
	s_clause 0x3
	global_store_b128 v31, v[4:7], s[10:11]
	global_store_b128 v31, v[12:15], s[10:11] offset:16
	global_store_b128 v31, v[12:15], s[10:11] offset:32
	;; [unrolled: 1-line block ×3, first 2 shown]
	s_and_saveexec_b32 s3, s2
	s_cbranch_execz .LBB3_208
; %bb.201:
	v_dual_mov_b32 v6, 0 :: v_dual_mov_b32 v13, s5
	v_mov_b32_e32 v12, s4
	s_clause 0x1
	global_load_b64 v[14:15], v6, s[8:9] offset:32 glc
	global_load_b64 v[2:3], v6, s[8:9] offset:40
	s_waitcnt vmcnt(0)
	v_readfirstlane_b32 s10, v2
	v_readfirstlane_b32 s11, v3
	s_delay_alu instid0(VALU_DEP_1) | instskip(NEXT) | instid1(SALU_CYCLE_1)
	s_and_b64 s[10:11], s[10:11], s[4:5]
	s_mul_i32 s11, s11, 24
	s_mul_hi_u32 s12, s10, 24
	s_mul_i32 s10, s10, 24
	s_add_i32 s12, s12, s11
	v_add_co_u32 v4, vcc_lo, v0, s10
	v_add_co_ci_u32_e32 v5, vcc_lo, s12, v1, vcc_lo
	s_mov_b32 s10, exec_lo
	global_store_b64 v[4:5], v[14:15], off
	s_waitcnt_vscnt null, 0x0
	global_atomic_cmpswap_b64 v[2:3], v6, v[12:15], s[8:9] offset:32 glc
	s_waitcnt vmcnt(0)
	v_cmpx_ne_u64_e64 v[2:3], v[14:15]
	s_cbranch_execz .LBB3_204
; %bb.202:
	s_mov_b32 s11, 0
.LBB3_203:                              ; =>This Inner Loop Header: Depth=1
	v_dual_mov_b32 v0, s4 :: v_dual_mov_b32 v1, s5
	s_sleep 1
	global_store_b64 v[4:5], v[2:3], off
	s_waitcnt_vscnt null, 0x0
	global_atomic_cmpswap_b64 v[0:1], v6, v[0:3], s[8:9] offset:32 glc
	s_waitcnt vmcnt(0)
	v_cmp_eq_u64_e32 vcc_lo, v[0:1], v[2:3]
	v_dual_mov_b32 v3, v1 :: v_dual_mov_b32 v2, v0
	s_or_b32 s11, vcc_lo, s11
	s_delay_alu instid0(SALU_CYCLE_1)
	s_and_not1_b32 exec_lo, exec_lo, s11
	s_cbranch_execnz .LBB3_203
.LBB3_204:
	s_or_b32 exec_lo, exec_lo, s10
	v_mov_b32_e32 v3, 0
	s_mov_b32 s11, exec_lo
	s_mov_b32 s10, exec_lo
	v_mbcnt_lo_u32_b32 v2, s11, 0
	global_load_b64 v[0:1], v3, s[8:9] offset:16
	v_cmpx_eq_u32_e32 0, v2
	s_cbranch_execz .LBB3_206
; %bb.205:
	s_bcnt1_i32_b32 s11, s11
	s_delay_alu instid0(SALU_CYCLE_1)
	v_mov_b32_e32 v2, s11
	s_waitcnt vmcnt(0)
	global_atomic_add_u64 v[0:1], v[2:3], off offset:8
.LBB3_206:
	s_or_b32 exec_lo, exec_lo, s10
	s_waitcnt vmcnt(0)
	global_load_b64 v[2:3], v[0:1], off offset:16
	s_waitcnt vmcnt(0)
	v_cmp_eq_u64_e32 vcc_lo, 0, v[2:3]
	s_cbranch_vccnz .LBB3_208
; %bb.207:
	global_load_b32 v0, v[0:1], off offset:24
	s_waitcnt vmcnt(0)
	v_dual_mov_b32 v1, 0 :: v_dual_and_b32 v4, 0xffffff, v0
	s_waitcnt_vscnt null, 0x0
	global_store_b64 v[2:3], v[0:1], off
	v_readfirstlane_b32 m0, v4
	s_sendmsg sendmsg(MSG_INTERRUPT)
.LBB3_208:
	s_or_b32 exec_lo, exec_lo, s3
	s_branch .LBB3_212
	.p2align	6
.LBB3_209:                              ;   in Loop: Header=BB3_212 Depth=1
	s_or_b32 exec_lo, exec_lo, s3
	s_delay_alu instid0(VALU_DEP_1) | instskip(NEXT) | instid1(VALU_DEP_1)
	v_readfirstlane_b32 s3, v0
	s_cmp_eq_u32 s3, 0
	s_cbranch_scc1 .LBB3_211
; %bb.210:                              ;   in Loop: Header=BB3_212 Depth=1
	s_sleep 1
	s_cbranch_execnz .LBB3_212
	s_branch .LBB3_214
	.p2align	6
.LBB3_211:
	s_branch .LBB3_214
.LBB3_212:                              ; =>This Inner Loop Header: Depth=1
	v_mov_b32_e32 v0, 1
	s_and_saveexec_b32 s3, s2
	s_cbranch_execz .LBB3_209
; %bb.213:                              ;   in Loop: Header=BB3_212 Depth=1
	global_load_b32 v0, v[8:9], off offset:20 glc
	s_waitcnt vmcnt(0)
	buffer_gl1_inv
	buffer_gl0_inv
	v_and_b32_e32 v0, 1, v0
	s_branch .LBB3_209
.LBB3_214:
	global_load_b64 v[0:1], v[10:11], off
	s_and_saveexec_b32 s3, s2
	s_cbranch_execz .LBB3_218
; %bb.215:
	v_mov_b32_e32 v8, 0
	s_clause 0x2
	global_load_b64 v[4:5], v8, s[8:9] offset:40
	global_load_b64 v[9:10], v8, s[8:9] offset:24 glc
	global_load_b64 v[6:7], v8, s[8:9]
	s_waitcnt vmcnt(2)
	v_add_co_u32 v11, vcc_lo, v4, 1
	v_add_co_ci_u32_e32 v12, vcc_lo, 0, v5, vcc_lo
	s_delay_alu instid0(VALU_DEP_2) | instskip(NEXT) | instid1(VALU_DEP_2)
	v_add_co_u32 v2, vcc_lo, v11, s4
	v_add_co_ci_u32_e32 v3, vcc_lo, s5, v12, vcc_lo
	s_delay_alu instid0(VALU_DEP_1) | instskip(SKIP_1) | instid1(VALU_DEP_1)
	v_cmp_eq_u64_e32 vcc_lo, 0, v[2:3]
	v_dual_cndmask_b32 v3, v3, v12 :: v_dual_cndmask_b32 v2, v2, v11
	v_and_b32_e32 v5, v3, v5
	s_delay_alu instid0(VALU_DEP_2) | instskip(NEXT) | instid1(VALU_DEP_2)
	v_and_b32_e32 v4, v2, v4
	v_mul_lo_u32 v5, v5, 24
	s_delay_alu instid0(VALU_DEP_2) | instskip(SKIP_1) | instid1(VALU_DEP_2)
	v_mul_hi_u32 v11, v4, 24
	v_mul_lo_u32 v4, v4, 24
	v_add_nc_u32_e32 v5, v11, v5
	s_waitcnt vmcnt(0)
	s_delay_alu instid0(VALU_DEP_2) | instskip(SKIP_1) | instid1(VALU_DEP_3)
	v_add_co_u32 v6, vcc_lo, v6, v4
	v_mov_b32_e32 v4, v9
	v_add_co_ci_u32_e32 v7, vcc_lo, v7, v5, vcc_lo
	v_mov_b32_e32 v5, v10
	global_store_b64 v[6:7], v[9:10], off
	s_waitcnt_vscnt null, 0x0
	global_atomic_cmpswap_b64 v[4:5], v8, v[2:5], s[8:9] offset:24 glc
	s_waitcnt vmcnt(0)
	v_cmp_ne_u64_e32 vcc_lo, v[4:5], v[9:10]
	s_and_b32 exec_lo, exec_lo, vcc_lo
	s_cbranch_execz .LBB3_218
; %bb.216:
	s_mov_b32 s2, 0
.LBB3_217:                              ; =>This Inner Loop Header: Depth=1
	s_sleep 1
	global_store_b64 v[6:7], v[4:5], off
	s_waitcnt_vscnt null, 0x0
	global_atomic_cmpswap_b64 v[9:10], v8, v[2:5], s[8:9] offset:24 glc
	s_waitcnt vmcnt(0)
	v_cmp_eq_u64_e32 vcc_lo, v[9:10], v[4:5]
	v_dual_mov_b32 v4, v9 :: v_dual_mov_b32 v5, v10
	s_or_b32 s2, vcc_lo, s2
	s_delay_alu instid0(SALU_CYCLE_1)
	s_and_not1_b32 exec_lo, exec_lo, s2
	s_cbranch_execnz .LBB3_217
.LBB3_218:
	s_or_b32 exec_lo, exec_lo, s3
	s_getpc_b64 s[4:5]
	s_add_u32 s4, s4, .str.1@rel32@lo+4
	s_addc_u32 s5, s5, .str.1@rel32@hi+12
	s_delay_alu instid0(SALU_CYCLE_1)
	s_cmp_lg_u64 s[4:5], 0
	s_cbranch_scc0 .LBB3_297
; %bb.219:
	s_waitcnt vmcnt(0)
	v_dual_mov_b32 v3, v1 :: v_dual_and_b32 v34, 2, v0
	v_dual_mov_b32 v6, 0 :: v_dual_mov_b32 v7, 2
	v_and_b32_e32 v2, -3, v0
	v_mov_b32_e32 v8, 1
	s_mov_b64 s[10:11], 48
	s_branch .LBB3_221
.LBB3_220:                              ;   in Loop: Header=BB3_221 Depth=1
	s_or_b32 exec_lo, exec_lo, s3
	s_sub_u32 s10, s10, s12
	s_subb_u32 s11, s11, s13
	s_add_u32 s4, s4, s12
	s_addc_u32 s5, s5, s13
	s_cmp_lg_u64 s[10:11], 0
	s_cbranch_scc0 .LBB3_296
.LBB3_221:                              ; =>This Loop Header: Depth=1
                                        ;     Child Loop BB3_230 Depth 2
                                        ;     Child Loop BB3_226 Depth 2
	;; [unrolled: 1-line block ×11, first 2 shown]
	v_cmp_lt_u64_e64 s2, s[10:11], 56
	v_cmp_gt_u64_e64 s3, s[10:11], 7
                                        ; implicit-def: $vgpr11_vgpr12
                                        ; implicit-def: $sgpr19
	s_delay_alu instid0(VALU_DEP_2) | instskip(SKIP_2) | instid1(VALU_DEP_1)
	s_and_b32 s2, s2, exec_lo
	s_cselect_b32 s13, s11, 0
	s_cselect_b32 s12, s10, 56
	s_and_b32 vcc_lo, exec_lo, s3
	s_mov_b32 s2, -1
	s_cbranch_vccz .LBB3_228
; %bb.222:                              ;   in Loop: Header=BB3_221 Depth=1
	s_and_not1_b32 vcc_lo, exec_lo, s2
	s_mov_b64 s[2:3], s[4:5]
	s_cbranch_vccz .LBB3_232
.LBB3_223:                              ;   in Loop: Header=BB3_221 Depth=1
	s_cmp_gt_u32 s19, 7
	s_cbranch_scc1 .LBB3_233
.LBB3_224:                              ;   in Loop: Header=BB3_221 Depth=1
	v_mov_b32_e32 v13, 0
	v_mov_b32_e32 v14, 0
	s_cmp_eq_u32 s19, 0
	s_cbranch_scc1 .LBB3_227
; %bb.225:                              ;   in Loop: Header=BB3_221 Depth=1
	s_mov_b64 s[14:15], 0
	s_mov_b64 s[16:17], 0
.LBB3_226:                              ;   Parent Loop BB3_221 Depth=1
                                        ; =>  This Inner Loop Header: Depth=2
	s_delay_alu instid0(SALU_CYCLE_1)
	s_add_u32 s26, s2, s16
	s_addc_u32 s27, s3, s17
	s_add_u32 s16, s16, 1
	global_load_u8 v4, v6, s[26:27]
	s_addc_u32 s17, s17, 0
	s_waitcnt vmcnt(0)
	v_and_b32_e32 v5, 0xffff, v4
	s_delay_alu instid0(VALU_DEP_1) | instskip(SKIP_3) | instid1(VALU_DEP_1)
	v_lshlrev_b64 v[4:5], s14, v[5:6]
	s_add_u32 s14, s14, 8
	s_addc_u32 s15, s15, 0
	s_cmp_lg_u32 s19, s16
	v_or_b32_e32 v13, v4, v13
	s_delay_alu instid0(VALU_DEP_2)
	v_or_b32_e32 v14, v5, v14
	s_cbranch_scc1 .LBB3_226
.LBB3_227:                              ;   in Loop: Header=BB3_221 Depth=1
	s_mov_b32 s26, 0
	s_cbranch_execz .LBB3_234
	s_branch .LBB3_235
.LBB3_228:                              ;   in Loop: Header=BB3_221 Depth=1
	v_mov_b32_e32 v11, 0
	v_mov_b32_e32 v12, 0
	s_cmp_eq_u64 s[10:11], 0
	s_mov_b64 s[2:3], 0
	s_cbranch_scc1 .LBB3_231
; %bb.229:                              ;   in Loop: Header=BB3_221 Depth=1
	v_mov_b32_e32 v11, 0
	v_mov_b32_e32 v12, 0
	s_lshl_b64 s[14:15], s[12:13], 3
	s_mov_b64 s[16:17], s[4:5]
.LBB3_230:                              ;   Parent Loop BB3_221 Depth=1
                                        ; =>  This Inner Loop Header: Depth=2
	global_load_u8 v4, v6, s[16:17]
	s_waitcnt vmcnt(0)
	v_and_b32_e32 v5, 0xffff, v4
	s_delay_alu instid0(VALU_DEP_1)
	v_lshlrev_b64 v[4:5], s2, v[5:6]
	s_add_u32 s2, s2, 8
	s_addc_u32 s3, s3, 0
	s_add_u32 s16, s16, 1
	s_addc_u32 s17, s17, 0
	s_cmp_lg_u32 s14, s2
	v_or_b32_e32 v11, v4, v11
	v_or_b32_e32 v12, v5, v12
	s_cbranch_scc1 .LBB3_230
.LBB3_231:                              ;   in Loop: Header=BB3_221 Depth=1
	s_mov_b32 s19, 0
	s_mov_b64 s[2:3], s[4:5]
	s_cbranch_execnz .LBB3_223
.LBB3_232:                              ;   in Loop: Header=BB3_221 Depth=1
	global_load_b64 v[11:12], v6, s[4:5]
	s_add_i32 s19, s12, -8
	s_add_u32 s2, s4, 8
	s_addc_u32 s3, s5, 0
	s_cmp_gt_u32 s19, 7
	s_cbranch_scc0 .LBB3_224
.LBB3_233:                              ;   in Loop: Header=BB3_221 Depth=1
                                        ; implicit-def: $vgpr13_vgpr14
                                        ; implicit-def: $sgpr26
.LBB3_234:                              ;   in Loop: Header=BB3_221 Depth=1
	global_load_b64 v[13:14], v6, s[2:3]
	s_add_i32 s26, s19, -8
	s_add_u32 s2, s2, 8
	s_addc_u32 s3, s3, 0
.LBB3_235:                              ;   in Loop: Header=BB3_221 Depth=1
	s_cmp_gt_u32 s26, 7
	s_cbranch_scc1 .LBB3_240
; %bb.236:                              ;   in Loop: Header=BB3_221 Depth=1
	v_mov_b32_e32 v15, 0
	v_mov_b32_e32 v16, 0
	s_cmp_eq_u32 s26, 0
	s_cbranch_scc1 .LBB3_239
; %bb.237:                              ;   in Loop: Header=BB3_221 Depth=1
	s_mov_b64 s[14:15], 0
	s_mov_b64 s[16:17], 0
.LBB3_238:                              ;   Parent Loop BB3_221 Depth=1
                                        ; =>  This Inner Loop Header: Depth=2
	s_delay_alu instid0(SALU_CYCLE_1)
	s_add_u32 s28, s2, s16
	s_addc_u32 s29, s3, s17
	s_add_u32 s16, s16, 1
	global_load_u8 v4, v6, s[28:29]
	s_addc_u32 s17, s17, 0
	s_waitcnt vmcnt(0)
	v_and_b32_e32 v5, 0xffff, v4
	s_delay_alu instid0(VALU_DEP_1) | instskip(SKIP_3) | instid1(VALU_DEP_1)
	v_lshlrev_b64 v[4:5], s14, v[5:6]
	s_add_u32 s14, s14, 8
	s_addc_u32 s15, s15, 0
	s_cmp_lg_u32 s26, s16
	v_or_b32_e32 v15, v4, v15
	s_delay_alu instid0(VALU_DEP_2)
	v_or_b32_e32 v16, v5, v16
	s_cbranch_scc1 .LBB3_238
.LBB3_239:                              ;   in Loop: Header=BB3_221 Depth=1
	s_mov_b32 s19, 0
	s_cbranch_execz .LBB3_241
	s_branch .LBB3_242
.LBB3_240:                              ;   in Loop: Header=BB3_221 Depth=1
                                        ; implicit-def: $sgpr19
.LBB3_241:                              ;   in Loop: Header=BB3_221 Depth=1
	global_load_b64 v[15:16], v6, s[2:3]
	s_add_i32 s19, s26, -8
	s_add_u32 s2, s2, 8
	s_addc_u32 s3, s3, 0
.LBB3_242:                              ;   in Loop: Header=BB3_221 Depth=1
	s_cmp_gt_u32 s19, 7
	s_cbranch_scc1 .LBB3_247
; %bb.243:                              ;   in Loop: Header=BB3_221 Depth=1
	v_mov_b32_e32 v17, 0
	v_mov_b32_e32 v18, 0
	s_cmp_eq_u32 s19, 0
	s_cbranch_scc1 .LBB3_246
; %bb.244:                              ;   in Loop: Header=BB3_221 Depth=1
	s_mov_b64 s[14:15], 0
	s_mov_b64 s[16:17], 0
.LBB3_245:                              ;   Parent Loop BB3_221 Depth=1
                                        ; =>  This Inner Loop Header: Depth=2
	s_delay_alu instid0(SALU_CYCLE_1)
	s_add_u32 s26, s2, s16
	s_addc_u32 s27, s3, s17
	s_add_u32 s16, s16, 1
	global_load_u8 v4, v6, s[26:27]
	s_addc_u32 s17, s17, 0
	s_waitcnt vmcnt(0)
	v_and_b32_e32 v5, 0xffff, v4
	s_delay_alu instid0(VALU_DEP_1) | instskip(SKIP_3) | instid1(VALU_DEP_1)
	v_lshlrev_b64 v[4:5], s14, v[5:6]
	s_add_u32 s14, s14, 8
	s_addc_u32 s15, s15, 0
	s_cmp_lg_u32 s19, s16
	v_or_b32_e32 v17, v4, v17
	s_delay_alu instid0(VALU_DEP_2)
	v_or_b32_e32 v18, v5, v18
	s_cbranch_scc1 .LBB3_245
.LBB3_246:                              ;   in Loop: Header=BB3_221 Depth=1
	s_mov_b32 s26, 0
	s_cbranch_execz .LBB3_248
	s_branch .LBB3_249
.LBB3_247:                              ;   in Loop: Header=BB3_221 Depth=1
                                        ; implicit-def: $vgpr17_vgpr18
                                        ; implicit-def: $sgpr26
.LBB3_248:                              ;   in Loop: Header=BB3_221 Depth=1
	global_load_b64 v[17:18], v6, s[2:3]
	s_add_i32 s26, s19, -8
	s_add_u32 s2, s2, 8
	s_addc_u32 s3, s3, 0
.LBB3_249:                              ;   in Loop: Header=BB3_221 Depth=1
	s_cmp_gt_u32 s26, 7
	s_cbranch_scc1 .LBB3_254
; %bb.250:                              ;   in Loop: Header=BB3_221 Depth=1
	v_mov_b32_e32 v19, 0
	v_mov_b32_e32 v20, 0
	s_cmp_eq_u32 s26, 0
	s_cbranch_scc1 .LBB3_253
; %bb.251:                              ;   in Loop: Header=BB3_221 Depth=1
	s_mov_b64 s[14:15], 0
	s_mov_b64 s[16:17], 0
.LBB3_252:                              ;   Parent Loop BB3_221 Depth=1
                                        ; =>  This Inner Loop Header: Depth=2
	s_delay_alu instid0(SALU_CYCLE_1)
	s_add_u32 s28, s2, s16
	s_addc_u32 s29, s3, s17
	s_add_u32 s16, s16, 1
	global_load_u8 v4, v6, s[28:29]
	s_addc_u32 s17, s17, 0
	s_waitcnt vmcnt(0)
	v_and_b32_e32 v5, 0xffff, v4
	s_delay_alu instid0(VALU_DEP_1) | instskip(SKIP_3) | instid1(VALU_DEP_1)
	v_lshlrev_b64 v[4:5], s14, v[5:6]
	s_add_u32 s14, s14, 8
	s_addc_u32 s15, s15, 0
	s_cmp_lg_u32 s26, s16
	v_or_b32_e32 v19, v4, v19
	s_delay_alu instid0(VALU_DEP_2)
	v_or_b32_e32 v20, v5, v20
	s_cbranch_scc1 .LBB3_252
.LBB3_253:                              ;   in Loop: Header=BB3_221 Depth=1
	s_mov_b32 s19, 0
	s_cbranch_execz .LBB3_255
	s_branch .LBB3_256
.LBB3_254:                              ;   in Loop: Header=BB3_221 Depth=1
                                        ; implicit-def: $sgpr19
.LBB3_255:                              ;   in Loop: Header=BB3_221 Depth=1
	global_load_b64 v[19:20], v6, s[2:3]
	s_add_i32 s19, s26, -8
	s_add_u32 s2, s2, 8
	s_addc_u32 s3, s3, 0
.LBB3_256:                              ;   in Loop: Header=BB3_221 Depth=1
	s_cmp_gt_u32 s19, 7
	s_cbranch_scc1 .LBB3_261
; %bb.257:                              ;   in Loop: Header=BB3_221 Depth=1
	v_mov_b32_e32 v21, 0
	v_mov_b32_e32 v22, 0
	s_cmp_eq_u32 s19, 0
	s_cbranch_scc1 .LBB3_260
; %bb.258:                              ;   in Loop: Header=BB3_221 Depth=1
	s_mov_b64 s[14:15], 0
	s_mov_b64 s[16:17], 0
.LBB3_259:                              ;   Parent Loop BB3_221 Depth=1
                                        ; =>  This Inner Loop Header: Depth=2
	s_delay_alu instid0(SALU_CYCLE_1)
	s_add_u32 s26, s2, s16
	s_addc_u32 s27, s3, s17
	s_add_u32 s16, s16, 1
	global_load_u8 v4, v6, s[26:27]
	s_addc_u32 s17, s17, 0
	s_waitcnt vmcnt(0)
	v_and_b32_e32 v5, 0xffff, v4
	s_delay_alu instid0(VALU_DEP_1) | instskip(SKIP_3) | instid1(VALU_DEP_1)
	v_lshlrev_b64 v[4:5], s14, v[5:6]
	s_add_u32 s14, s14, 8
	s_addc_u32 s15, s15, 0
	s_cmp_lg_u32 s19, s16
	v_or_b32_e32 v21, v4, v21
	s_delay_alu instid0(VALU_DEP_2)
	v_or_b32_e32 v22, v5, v22
	s_cbranch_scc1 .LBB3_259
.LBB3_260:                              ;   in Loop: Header=BB3_221 Depth=1
	s_mov_b32 s26, 0
	s_cbranch_execz .LBB3_262
	s_branch .LBB3_263
.LBB3_261:                              ;   in Loop: Header=BB3_221 Depth=1
                                        ; implicit-def: $vgpr21_vgpr22
                                        ; implicit-def: $sgpr26
.LBB3_262:                              ;   in Loop: Header=BB3_221 Depth=1
	global_load_b64 v[21:22], v6, s[2:3]
	s_add_i32 s26, s19, -8
	s_add_u32 s2, s2, 8
	s_addc_u32 s3, s3, 0
.LBB3_263:                              ;   in Loop: Header=BB3_221 Depth=1
	s_cmp_gt_u32 s26, 7
	s_cbranch_scc1 .LBB3_268
; %bb.264:                              ;   in Loop: Header=BB3_221 Depth=1
	v_mov_b32_e32 v23, 0
	v_mov_b32_e32 v24, 0
	s_cmp_eq_u32 s26, 0
	s_cbranch_scc1 .LBB3_267
; %bb.265:                              ;   in Loop: Header=BB3_221 Depth=1
	s_mov_b64 s[14:15], 0
	s_mov_b64 s[16:17], s[2:3]
.LBB3_266:                              ;   Parent Loop BB3_221 Depth=1
                                        ; =>  This Inner Loop Header: Depth=2
	global_load_u8 v4, v6, s[16:17]
	s_add_i32 s26, s26, -1
	s_waitcnt vmcnt(0)
	v_and_b32_e32 v5, 0xffff, v4
	s_delay_alu instid0(VALU_DEP_1)
	v_lshlrev_b64 v[4:5], s14, v[5:6]
	s_add_u32 s14, s14, 8
	s_addc_u32 s15, s15, 0
	s_add_u32 s16, s16, 1
	s_addc_u32 s17, s17, 0
	s_cmp_lg_u32 s26, 0
	v_or_b32_e32 v23, v4, v23
	v_or_b32_e32 v24, v5, v24
	s_cbranch_scc1 .LBB3_266
.LBB3_267:                              ;   in Loop: Header=BB3_221 Depth=1
	s_cbranch_execz .LBB3_269
	s_branch .LBB3_270
.LBB3_268:                              ;   in Loop: Header=BB3_221 Depth=1
.LBB3_269:                              ;   in Loop: Header=BB3_221 Depth=1
	global_load_b64 v[23:24], v6, s[2:3]
.LBB3_270:                              ;   in Loop: Header=BB3_221 Depth=1
	v_readfirstlane_b32 s2, v33
	s_waitcnt vmcnt(0)
	v_mov_b32_e32 v4, 0
	v_mov_b32_e32 v5, 0
	s_delay_alu instid0(VALU_DEP_3) | instskip(NEXT) | instid1(VALU_DEP_1)
	v_cmp_eq_u32_e64 s2, s2, v33
	s_and_saveexec_b32 s3, s2
	s_cbranch_execz .LBB3_276
; %bb.271:                              ;   in Loop: Header=BB3_221 Depth=1
	global_load_b64 v[27:28], v6, s[8:9] offset:24 glc
	s_waitcnt vmcnt(0)
	buffer_gl1_inv
	buffer_gl0_inv
	s_clause 0x1
	global_load_b64 v[4:5], v6, s[8:9] offset:40
	global_load_b64 v[9:10], v6, s[8:9]
	s_mov_b32 s14, exec_lo
	s_waitcnt vmcnt(1)
	v_and_b32_e32 v5, v5, v28
	v_and_b32_e32 v4, v4, v27
	s_delay_alu instid0(VALU_DEP_2) | instskip(NEXT) | instid1(VALU_DEP_2)
	v_mul_lo_u32 v5, v5, 24
	v_mul_hi_u32 v25, v4, 24
	v_mul_lo_u32 v4, v4, 24
	s_delay_alu instid0(VALU_DEP_2) | instskip(SKIP_1) | instid1(VALU_DEP_2)
	v_add_nc_u32_e32 v5, v25, v5
	s_waitcnt vmcnt(0)
	v_add_co_u32 v4, vcc_lo, v9, v4
	s_delay_alu instid0(VALU_DEP_2)
	v_add_co_ci_u32_e32 v5, vcc_lo, v10, v5, vcc_lo
	global_load_b64 v[25:26], v[4:5], off glc
	s_waitcnt vmcnt(0)
	global_atomic_cmpswap_b64 v[4:5], v6, v[25:28], s[8:9] offset:24 glc
	s_waitcnt vmcnt(0)
	buffer_gl1_inv
	buffer_gl0_inv
	v_cmpx_ne_u64_e64 v[4:5], v[27:28]
	s_cbranch_execz .LBB3_275
; %bb.272:                              ;   in Loop: Header=BB3_221 Depth=1
	s_mov_b32 s15, 0
	.p2align	6
.LBB3_273:                              ;   Parent Loop BB3_221 Depth=1
                                        ; =>  This Inner Loop Header: Depth=2
	s_sleep 1
	s_clause 0x1
	global_load_b64 v[9:10], v6, s[8:9] offset:40
	global_load_b64 v[25:26], v6, s[8:9]
	v_dual_mov_b32 v28, v5 :: v_dual_mov_b32 v27, v4
	s_waitcnt vmcnt(1)
	s_delay_alu instid0(VALU_DEP_1) | instskip(SKIP_1) | instid1(VALU_DEP_1)
	v_and_b32_e32 v9, v9, v27
	s_waitcnt vmcnt(0)
	v_mad_u64_u32 v[4:5], null, v9, 24, v[25:26]
	v_and_b32_e32 v25, v10, v28
	s_delay_alu instid0(VALU_DEP_1) | instskip(NEXT) | instid1(VALU_DEP_1)
	v_mad_u64_u32 v[9:10], null, v25, 24, v[5:6]
	v_mov_b32_e32 v5, v9
	global_load_b64 v[25:26], v[4:5], off glc
	s_waitcnt vmcnt(0)
	global_atomic_cmpswap_b64 v[4:5], v6, v[25:28], s[8:9] offset:24 glc
	s_waitcnt vmcnt(0)
	buffer_gl1_inv
	buffer_gl0_inv
	v_cmp_eq_u64_e32 vcc_lo, v[4:5], v[27:28]
	s_or_b32 s15, vcc_lo, s15
	s_delay_alu instid0(SALU_CYCLE_1)
	s_and_not1_b32 exec_lo, exec_lo, s15
	s_cbranch_execnz .LBB3_273
; %bb.274:                              ;   in Loop: Header=BB3_221 Depth=1
	s_or_b32 exec_lo, exec_lo, s15
.LBB3_275:                              ;   in Loop: Header=BB3_221 Depth=1
	s_delay_alu instid0(SALU_CYCLE_1)
	s_or_b32 exec_lo, exec_lo, s14
.LBB3_276:                              ;   in Loop: Header=BB3_221 Depth=1
	s_delay_alu instid0(SALU_CYCLE_1)
	s_or_b32 exec_lo, exec_lo, s3
	s_clause 0x1
	global_load_b64 v[9:10], v6, s[8:9] offset:40
	global_load_b128 v[25:28], v6, s[8:9]
	v_readfirstlane_b32 s14, v4
	v_readfirstlane_b32 s15, v5
	s_mov_b32 s3, exec_lo
	s_waitcnt vmcnt(1)
	v_readfirstlane_b32 s16, v9
	v_readfirstlane_b32 s17, v10
	s_delay_alu instid0(VALU_DEP_1) | instskip(NEXT) | instid1(SALU_CYCLE_1)
	s_and_b64 s[16:17], s[14:15], s[16:17]
	s_mul_i32 s19, s17, 24
	s_mul_hi_u32 s26, s16, 24
	s_mul_i32 s27, s16, 24
	s_add_i32 s26, s26, s19
	s_waitcnt vmcnt(0)
	v_add_co_u32 v29, vcc_lo, v25, s27
	v_add_co_ci_u32_e32 v30, vcc_lo, s26, v26, vcc_lo
	s_and_saveexec_b32 s19, s2
	s_cbranch_execz .LBB3_278
; %bb.277:                              ;   in Loop: Header=BB3_221 Depth=1
	v_mov_b32_e32 v5, s3
	global_store_b128 v[29:30], v[5:8], off offset:8
.LBB3_278:                              ;   in Loop: Header=BB3_221 Depth=1
	s_or_b32 exec_lo, exec_lo, s19
	s_lshl_b64 s[16:17], s[16:17], 12
	v_cmp_gt_u64_e64 vcc_lo, s[10:11], 56
	v_or_b32_e32 v5, v2, v34
	v_add_co_u32 v27, s3, v27, s16
	s_delay_alu instid0(VALU_DEP_1)
	v_add_co_ci_u32_e64 v28, s3, s17, v28, s3
	s_lshl_b32 s3, s12, 2
	v_or_b32_e32 v4, 0, v3
	v_cndmask_b32_e32 v2, v5, v2, vcc_lo
	s_add_i32 s3, s3, 28
	v_readfirstlane_b32 s16, v27
	s_and_b32 s3, s3, 0x1e0
	v_cndmask_b32_e32 v10, v4, v3, vcc_lo
	v_readfirstlane_b32 s17, v28
	v_and_or_b32 v9, 0xffffff1f, v2, s3
	s_clause 0x3
	global_store_b128 v31, v[9:12], s[16:17]
	global_store_b128 v31, v[13:16], s[16:17] offset:16
	global_store_b128 v31, v[17:20], s[16:17] offset:32
	;; [unrolled: 1-line block ×3, first 2 shown]
	s_and_saveexec_b32 s3, s2
	s_cbranch_execz .LBB3_286
; %bb.279:                              ;   in Loop: Header=BB3_221 Depth=1
	s_clause 0x1
	global_load_b64 v[13:14], v6, s[8:9] offset:32 glc
	global_load_b64 v[2:3], v6, s[8:9] offset:40
	v_dual_mov_b32 v11, s14 :: v_dual_mov_b32 v12, s15
	s_waitcnt vmcnt(0)
	v_readfirstlane_b32 s16, v2
	v_readfirstlane_b32 s17, v3
	s_delay_alu instid0(VALU_DEP_1) | instskip(NEXT) | instid1(SALU_CYCLE_1)
	s_and_b64 s[16:17], s[16:17], s[14:15]
	s_mul_i32 s17, s17, 24
	s_mul_hi_u32 s19, s16, 24
	s_mul_i32 s16, s16, 24
	s_add_i32 s19, s19, s17
	v_add_co_u32 v9, vcc_lo, v25, s16
	v_add_co_ci_u32_e32 v10, vcc_lo, s19, v26, vcc_lo
	s_mov_b32 s16, exec_lo
	global_store_b64 v[9:10], v[13:14], off
	s_waitcnt_vscnt null, 0x0
	global_atomic_cmpswap_b64 v[4:5], v6, v[11:14], s[8:9] offset:32 glc
	s_waitcnt vmcnt(0)
	v_cmpx_ne_u64_e64 v[4:5], v[13:14]
	s_cbranch_execz .LBB3_282
; %bb.280:                              ;   in Loop: Header=BB3_221 Depth=1
	s_mov_b32 s17, 0
.LBB3_281:                              ;   Parent Loop BB3_221 Depth=1
                                        ; =>  This Inner Loop Header: Depth=2
	v_dual_mov_b32 v2, s14 :: v_dual_mov_b32 v3, s15
	s_sleep 1
	global_store_b64 v[9:10], v[4:5], off
	s_waitcnt_vscnt null, 0x0
	global_atomic_cmpswap_b64 v[2:3], v6, v[2:5], s[8:9] offset:32 glc
	s_waitcnt vmcnt(0)
	v_cmp_eq_u64_e32 vcc_lo, v[2:3], v[4:5]
	v_dual_mov_b32 v5, v3 :: v_dual_mov_b32 v4, v2
	s_or_b32 s17, vcc_lo, s17
	s_delay_alu instid0(SALU_CYCLE_1)
	s_and_not1_b32 exec_lo, exec_lo, s17
	s_cbranch_execnz .LBB3_281
.LBB3_282:                              ;   in Loop: Header=BB3_221 Depth=1
	s_or_b32 exec_lo, exec_lo, s16
	global_load_b64 v[2:3], v6, s[8:9] offset:16
	s_mov_b32 s17, exec_lo
	s_mov_b32 s16, exec_lo
	v_mbcnt_lo_u32_b32 v4, s17, 0
	s_delay_alu instid0(VALU_DEP_1)
	v_cmpx_eq_u32_e32 0, v4
	s_cbranch_execz .LBB3_284
; %bb.283:                              ;   in Loop: Header=BB3_221 Depth=1
	s_bcnt1_i32_b32 s17, s17
	s_delay_alu instid0(SALU_CYCLE_1)
	v_mov_b32_e32 v5, s17
	s_waitcnt vmcnt(0)
	global_atomic_add_u64 v[2:3], v[5:6], off offset:8
.LBB3_284:                              ;   in Loop: Header=BB3_221 Depth=1
	s_or_b32 exec_lo, exec_lo, s16
	s_waitcnt vmcnt(0)
	global_load_b64 v[9:10], v[2:3], off offset:16
	s_waitcnt vmcnt(0)
	v_cmp_eq_u64_e32 vcc_lo, 0, v[9:10]
	s_cbranch_vccnz .LBB3_286
; %bb.285:                              ;   in Loop: Header=BB3_221 Depth=1
	global_load_b32 v5, v[2:3], off offset:24
	s_waitcnt vmcnt(0)
	v_and_b32_e32 v2, 0xffffff, v5
	s_waitcnt_vscnt null, 0x0
	global_store_b64 v[9:10], v[5:6], off
	v_readfirstlane_b32 m0, v2
	s_sendmsg sendmsg(MSG_INTERRUPT)
.LBB3_286:                              ;   in Loop: Header=BB3_221 Depth=1
	s_or_b32 exec_lo, exec_lo, s3
	v_add_co_u32 v2, vcc_lo, v27, v31
	v_add_co_ci_u32_e32 v3, vcc_lo, 0, v28, vcc_lo
	s_branch .LBB3_290
	.p2align	6
.LBB3_287:                              ;   in Loop: Header=BB3_290 Depth=2
	s_or_b32 exec_lo, exec_lo, s3
	s_delay_alu instid0(VALU_DEP_1) | instskip(NEXT) | instid1(VALU_DEP_1)
	v_readfirstlane_b32 s3, v4
	s_cmp_eq_u32 s3, 0
	s_cbranch_scc1 .LBB3_289
; %bb.288:                              ;   in Loop: Header=BB3_290 Depth=2
	s_sleep 1
	s_cbranch_execnz .LBB3_290
	s_branch .LBB3_292
	.p2align	6
.LBB3_289:                              ;   in Loop: Header=BB3_221 Depth=1
	s_branch .LBB3_292
.LBB3_290:                              ;   Parent Loop BB3_221 Depth=1
                                        ; =>  This Inner Loop Header: Depth=2
	v_mov_b32_e32 v4, 1
	s_and_saveexec_b32 s3, s2
	s_cbranch_execz .LBB3_287
; %bb.291:                              ;   in Loop: Header=BB3_290 Depth=2
	global_load_b32 v4, v[29:30], off offset:20 glc
	s_waitcnt vmcnt(0)
	buffer_gl1_inv
	buffer_gl0_inv
	v_and_b32_e32 v4, 1, v4
	s_branch .LBB3_287
.LBB3_292:                              ;   in Loop: Header=BB3_221 Depth=1
	global_load_b128 v[2:5], v[2:3], off
	s_and_saveexec_b32 s3, s2
	s_cbranch_execz .LBB3_220
; %bb.293:                              ;   in Loop: Header=BB3_221 Depth=1
	s_clause 0x2
	global_load_b64 v[4:5], v6, s[8:9] offset:40
	global_load_b64 v[13:14], v6, s[8:9] offset:24 glc
	global_load_b64 v[11:12], v6, s[8:9]
	s_waitcnt vmcnt(2)
	v_add_co_u32 v15, vcc_lo, v4, 1
	v_add_co_ci_u32_e32 v16, vcc_lo, 0, v5, vcc_lo
	s_delay_alu instid0(VALU_DEP_2) | instskip(NEXT) | instid1(VALU_DEP_2)
	v_add_co_u32 v9, vcc_lo, v15, s14
	v_add_co_ci_u32_e32 v10, vcc_lo, s15, v16, vcc_lo
	s_delay_alu instid0(VALU_DEP_1) | instskip(SKIP_1) | instid1(VALU_DEP_1)
	v_cmp_eq_u64_e32 vcc_lo, 0, v[9:10]
	v_dual_cndmask_b32 v10, v10, v16 :: v_dual_cndmask_b32 v9, v9, v15
	v_and_b32_e32 v5, v10, v5
	s_delay_alu instid0(VALU_DEP_2) | instskip(NEXT) | instid1(VALU_DEP_2)
	v_and_b32_e32 v4, v9, v4
	v_mul_lo_u32 v5, v5, 24
	s_delay_alu instid0(VALU_DEP_2) | instskip(SKIP_1) | instid1(VALU_DEP_2)
	v_mul_hi_u32 v15, v4, 24
	v_mul_lo_u32 v4, v4, 24
	v_add_nc_u32_e32 v5, v15, v5
	s_waitcnt vmcnt(0)
	s_delay_alu instid0(VALU_DEP_2) | instskip(SKIP_1) | instid1(VALU_DEP_3)
	v_add_co_u32 v4, vcc_lo, v11, v4
	v_mov_b32_e32 v11, v13
	v_add_co_ci_u32_e32 v5, vcc_lo, v12, v5, vcc_lo
	v_mov_b32_e32 v12, v14
	global_store_b64 v[4:5], v[13:14], off
	s_waitcnt_vscnt null, 0x0
	global_atomic_cmpswap_b64 v[11:12], v6, v[9:12], s[8:9] offset:24 glc
	s_waitcnt vmcnt(0)
	v_cmp_ne_u64_e32 vcc_lo, v[11:12], v[13:14]
	s_and_b32 exec_lo, exec_lo, vcc_lo
	s_cbranch_execz .LBB3_220
; %bb.294:                              ;   in Loop: Header=BB3_221 Depth=1
	s_mov_b32 s2, 0
.LBB3_295:                              ;   Parent Loop BB3_221 Depth=1
                                        ; =>  This Inner Loop Header: Depth=2
	s_sleep 1
	global_store_b64 v[4:5], v[11:12], off
	s_waitcnt_vscnt null, 0x0
	global_atomic_cmpswap_b64 v[13:14], v6, v[9:12], s[8:9] offset:24 glc
	s_waitcnt vmcnt(0)
	v_cmp_eq_u64_e32 vcc_lo, v[13:14], v[11:12]
	v_dual_mov_b32 v11, v13 :: v_dual_mov_b32 v12, v14
	s_or_b32 s2, vcc_lo, s2
	s_delay_alu instid0(SALU_CYCLE_1)
	s_and_not1_b32 exec_lo, exec_lo, s2
	s_cbranch_execnz .LBB3_295
	s_branch .LBB3_220
.LBB3_296:
	s_branch .LBB3_325
.LBB3_297:
                                        ; implicit-def: $vgpr2_vgpr3
	s_cbranch_execz .LBB3_325
; %bb.298:
	v_readfirstlane_b32 s2, v33
	v_mov_b32_e32 v8, 0
	v_mov_b32_e32 v9, 0
	s_delay_alu instid0(VALU_DEP_3) | instskip(NEXT) | instid1(VALU_DEP_1)
	v_cmp_eq_u32_e64 s2, s2, v33
	s_and_saveexec_b32 s3, s2
	s_cbranch_execz .LBB3_304
; %bb.299:
	s_waitcnt vmcnt(0)
	v_mov_b32_e32 v2, 0
	s_mov_b32 s4, exec_lo
	global_load_b64 v[5:6], v2, s[8:9] offset:24 glc
	s_waitcnt vmcnt(0)
	buffer_gl1_inv
	buffer_gl0_inv
	s_clause 0x1
	global_load_b64 v[3:4], v2, s[8:9] offset:40
	global_load_b64 v[7:8], v2, s[8:9]
	s_waitcnt vmcnt(1)
	v_and_b32_e32 v3, v3, v5
	v_and_b32_e32 v4, v4, v6
	s_delay_alu instid0(VALU_DEP_2) | instskip(NEXT) | instid1(VALU_DEP_2)
	v_mul_hi_u32 v9, v3, 24
	v_mul_lo_u32 v4, v4, 24
	v_mul_lo_u32 v3, v3, 24
	s_delay_alu instid0(VALU_DEP_2) | instskip(SKIP_1) | instid1(VALU_DEP_2)
	v_add_nc_u32_e32 v4, v9, v4
	s_waitcnt vmcnt(0)
	v_add_co_u32 v3, vcc_lo, v7, v3
	s_delay_alu instid0(VALU_DEP_2)
	v_add_co_ci_u32_e32 v4, vcc_lo, v8, v4, vcc_lo
	global_load_b64 v[3:4], v[3:4], off glc
	s_waitcnt vmcnt(0)
	global_atomic_cmpswap_b64 v[8:9], v2, v[3:6], s[8:9] offset:24 glc
	s_waitcnt vmcnt(0)
	buffer_gl1_inv
	buffer_gl0_inv
	v_cmpx_ne_u64_e64 v[8:9], v[5:6]
	s_cbranch_execz .LBB3_303
; %bb.300:
	s_mov_b32 s5, 0
	.p2align	6
.LBB3_301:                              ; =>This Inner Loop Header: Depth=1
	s_sleep 1
	s_clause 0x1
	global_load_b64 v[3:4], v2, s[8:9] offset:40
	global_load_b64 v[10:11], v2, s[8:9]
	v_dual_mov_b32 v5, v8 :: v_dual_mov_b32 v6, v9
	s_waitcnt vmcnt(1)
	s_delay_alu instid0(VALU_DEP_1) | instskip(NEXT) | instid1(VALU_DEP_2)
	v_and_b32_e32 v3, v3, v5
	v_and_b32_e32 v4, v4, v6
	s_waitcnt vmcnt(0)
	s_delay_alu instid0(VALU_DEP_2) | instskip(NEXT) | instid1(VALU_DEP_1)
	v_mad_u64_u32 v[7:8], null, v3, 24, v[10:11]
	v_mov_b32_e32 v3, v8
	s_delay_alu instid0(VALU_DEP_1)
	v_mad_u64_u32 v[8:9], null, v4, 24, v[3:4]
	global_load_b64 v[3:4], v[7:8], off glc
	s_waitcnt vmcnt(0)
	global_atomic_cmpswap_b64 v[8:9], v2, v[3:6], s[8:9] offset:24 glc
	s_waitcnt vmcnt(0)
	buffer_gl1_inv
	buffer_gl0_inv
	v_cmp_eq_u64_e32 vcc_lo, v[8:9], v[5:6]
	s_or_b32 s5, vcc_lo, s5
	s_delay_alu instid0(SALU_CYCLE_1)
	s_and_not1_b32 exec_lo, exec_lo, s5
	s_cbranch_execnz .LBB3_301
; %bb.302:
	s_or_b32 exec_lo, exec_lo, s5
.LBB3_303:
	s_delay_alu instid0(SALU_CYCLE_1)
	s_or_b32 exec_lo, exec_lo, s4
.LBB3_304:
	s_delay_alu instid0(SALU_CYCLE_1)
	s_or_b32 exec_lo, exec_lo, s3
	s_waitcnt vmcnt(0)
	v_mov_b32_e32 v2, 0
	v_readfirstlane_b32 s4, v8
	v_readfirstlane_b32 s5, v9
	s_mov_b32 s3, exec_lo
	s_clause 0x1
	global_load_b64 v[10:11], v2, s[8:9] offset:40
	global_load_b128 v[4:7], v2, s[8:9]
	s_waitcnt vmcnt(1)
	v_readfirstlane_b32 s10, v10
	v_readfirstlane_b32 s11, v11
	s_delay_alu instid0(VALU_DEP_1) | instskip(NEXT) | instid1(SALU_CYCLE_1)
	s_and_b64 s[10:11], s[4:5], s[10:11]
	s_mul_i32 s12, s11, 24
	s_mul_hi_u32 s13, s10, 24
	s_mul_i32 s14, s10, 24
	s_add_i32 s13, s13, s12
	s_waitcnt vmcnt(0)
	v_add_co_u32 v8, vcc_lo, v4, s14
	v_add_co_ci_u32_e32 v9, vcc_lo, s13, v5, vcc_lo
	s_and_saveexec_b32 s12, s2
	s_cbranch_execz .LBB3_306
; %bb.305:
	v_dual_mov_b32 v10, s3 :: v_dual_mov_b32 v11, v2
	v_dual_mov_b32 v12, 2 :: v_dual_mov_b32 v13, 1
	global_store_b128 v[8:9], v[10:13], off offset:8
.LBB3_306:
	s_or_b32 exec_lo, exec_lo, s12
	s_lshl_b64 s[10:11], s[10:11], 12
	s_mov_b32 s12, 0
	v_add_co_u32 v6, vcc_lo, v6, s10
	v_add_co_ci_u32_e32 v7, vcc_lo, s11, v7, vcc_lo
	s_mov_b32 s13, s12
	s_delay_alu instid0(VALU_DEP_2)
	v_readfirstlane_b32 s10, v6
	v_add_co_u32 v6, vcc_lo, v6, v31
	s_mov_b32 s14, s12
	s_mov_b32 s15, s12
	v_and_or_b32 v0, 0xffffff1f, v0, 32
	v_dual_mov_b32 v3, v2 :: v_dual_mov_b32 v10, s12
	v_readfirstlane_b32 s11, v7
	v_add_co_ci_u32_e32 v7, vcc_lo, 0, v7, vcc_lo
	v_dual_mov_b32 v11, s13 :: v_dual_mov_b32 v12, s14
	v_mov_b32_e32 v13, s15
	s_clause 0x3
	global_store_b128 v31, v[0:3], s[10:11]
	global_store_b128 v31, v[10:13], s[10:11] offset:16
	global_store_b128 v31, v[10:13], s[10:11] offset:32
	;; [unrolled: 1-line block ×3, first 2 shown]
	s_and_saveexec_b32 s3, s2
	s_cbranch_execz .LBB3_314
; %bb.307:
	v_dual_mov_b32 v10, 0 :: v_dual_mov_b32 v11, s4
	v_mov_b32_e32 v12, s5
	s_clause 0x1
	global_load_b64 v[13:14], v10, s[8:9] offset:32 glc
	global_load_b64 v[0:1], v10, s[8:9] offset:40
	s_waitcnt vmcnt(0)
	v_readfirstlane_b32 s10, v0
	v_readfirstlane_b32 s11, v1
	s_delay_alu instid0(VALU_DEP_1) | instskip(NEXT) | instid1(SALU_CYCLE_1)
	s_and_b64 s[10:11], s[10:11], s[4:5]
	s_mul_i32 s11, s11, 24
	s_mul_hi_u32 s12, s10, 24
	s_mul_i32 s10, s10, 24
	s_add_i32 s12, s12, s11
	v_add_co_u32 v4, vcc_lo, v4, s10
	v_add_co_ci_u32_e32 v5, vcc_lo, s12, v5, vcc_lo
	s_mov_b32 s10, exec_lo
	global_store_b64 v[4:5], v[13:14], off
	s_waitcnt_vscnt null, 0x0
	global_atomic_cmpswap_b64 v[2:3], v10, v[11:14], s[8:9] offset:32 glc
	s_waitcnt vmcnt(0)
	v_cmpx_ne_u64_e64 v[2:3], v[13:14]
	s_cbranch_execz .LBB3_310
; %bb.308:
	s_mov_b32 s11, 0
.LBB3_309:                              ; =>This Inner Loop Header: Depth=1
	v_dual_mov_b32 v0, s4 :: v_dual_mov_b32 v1, s5
	s_sleep 1
	global_store_b64 v[4:5], v[2:3], off
	s_waitcnt_vscnt null, 0x0
	global_atomic_cmpswap_b64 v[0:1], v10, v[0:3], s[8:9] offset:32 glc
	s_waitcnt vmcnt(0)
	v_cmp_eq_u64_e32 vcc_lo, v[0:1], v[2:3]
	v_dual_mov_b32 v3, v1 :: v_dual_mov_b32 v2, v0
	s_or_b32 s11, vcc_lo, s11
	s_delay_alu instid0(SALU_CYCLE_1)
	s_and_not1_b32 exec_lo, exec_lo, s11
	s_cbranch_execnz .LBB3_309
.LBB3_310:
	s_or_b32 exec_lo, exec_lo, s10
	v_mov_b32_e32 v3, 0
	s_mov_b32 s11, exec_lo
	s_mov_b32 s10, exec_lo
	v_mbcnt_lo_u32_b32 v2, s11, 0
	global_load_b64 v[0:1], v3, s[8:9] offset:16
	v_cmpx_eq_u32_e32 0, v2
	s_cbranch_execz .LBB3_312
; %bb.311:
	s_bcnt1_i32_b32 s11, s11
	s_delay_alu instid0(SALU_CYCLE_1)
	v_mov_b32_e32 v2, s11
	s_waitcnt vmcnt(0)
	global_atomic_add_u64 v[0:1], v[2:3], off offset:8
.LBB3_312:
	s_or_b32 exec_lo, exec_lo, s10
	s_waitcnt vmcnt(0)
	global_load_b64 v[2:3], v[0:1], off offset:16
	s_waitcnt vmcnt(0)
	v_cmp_eq_u64_e32 vcc_lo, 0, v[2:3]
	s_cbranch_vccnz .LBB3_314
; %bb.313:
	global_load_b32 v0, v[0:1], off offset:24
	s_waitcnt vmcnt(0)
	v_dual_mov_b32 v1, 0 :: v_dual_and_b32 v4, 0xffffff, v0
	s_waitcnt_vscnt null, 0x0
	global_store_b64 v[2:3], v[0:1], off
	v_readfirstlane_b32 m0, v4
	s_sendmsg sendmsg(MSG_INTERRUPT)
.LBB3_314:
	s_or_b32 exec_lo, exec_lo, s3
	s_branch .LBB3_318
	.p2align	6
.LBB3_315:                              ;   in Loop: Header=BB3_318 Depth=1
	s_or_b32 exec_lo, exec_lo, s3
	s_delay_alu instid0(VALU_DEP_1) | instskip(NEXT) | instid1(VALU_DEP_1)
	v_readfirstlane_b32 s3, v0
	s_cmp_eq_u32 s3, 0
	s_cbranch_scc1 .LBB3_317
; %bb.316:                              ;   in Loop: Header=BB3_318 Depth=1
	s_sleep 1
	s_cbranch_execnz .LBB3_318
	s_branch .LBB3_320
	.p2align	6
.LBB3_317:
	s_branch .LBB3_320
.LBB3_318:                              ; =>This Inner Loop Header: Depth=1
	v_mov_b32_e32 v0, 1
	s_and_saveexec_b32 s3, s2
	s_cbranch_execz .LBB3_315
; %bb.319:                              ;   in Loop: Header=BB3_318 Depth=1
	global_load_b32 v0, v[8:9], off offset:20 glc
	s_waitcnt vmcnt(0)
	buffer_gl1_inv
	buffer_gl0_inv
	v_and_b32_e32 v0, 1, v0
	s_branch .LBB3_315
.LBB3_320:
	global_load_b64 v[2:3], v[6:7], off
	s_and_saveexec_b32 s3, s2
	s_cbranch_execz .LBB3_324
; %bb.321:
	v_mov_b32_e32 v8, 0
	s_clause 0x2
	global_load_b64 v[0:1], v8, s[8:9] offset:40
	global_load_b64 v[9:10], v8, s[8:9] offset:24 glc
	global_load_b64 v[6:7], v8, s[8:9]
	s_waitcnt vmcnt(2)
	v_add_co_u32 v11, vcc_lo, v0, 1
	v_add_co_ci_u32_e32 v12, vcc_lo, 0, v1, vcc_lo
	s_delay_alu instid0(VALU_DEP_2) | instskip(NEXT) | instid1(VALU_DEP_2)
	v_add_co_u32 v4, vcc_lo, v11, s4
	v_add_co_ci_u32_e32 v5, vcc_lo, s5, v12, vcc_lo
	s_delay_alu instid0(VALU_DEP_1) | instskip(SKIP_1) | instid1(VALU_DEP_1)
	v_cmp_eq_u64_e32 vcc_lo, 0, v[4:5]
	v_dual_cndmask_b32 v5, v5, v12 :: v_dual_cndmask_b32 v4, v4, v11
	v_and_b32_e32 v1, v5, v1
	s_delay_alu instid0(VALU_DEP_2) | instskip(NEXT) | instid1(VALU_DEP_2)
	v_and_b32_e32 v0, v4, v0
	v_mul_lo_u32 v1, v1, 24
	s_delay_alu instid0(VALU_DEP_2) | instskip(SKIP_1) | instid1(VALU_DEP_2)
	v_mul_hi_u32 v11, v0, 24
	v_mul_lo_u32 v0, v0, 24
	v_add_nc_u32_e32 v1, v11, v1
	s_waitcnt vmcnt(0)
	s_delay_alu instid0(VALU_DEP_2) | instskip(SKIP_1) | instid1(VALU_DEP_3)
	v_add_co_u32 v0, vcc_lo, v6, v0
	v_mov_b32_e32 v6, v9
	v_add_co_ci_u32_e32 v1, vcc_lo, v7, v1, vcc_lo
	v_mov_b32_e32 v7, v10
	global_store_b64 v[0:1], v[9:10], off
	s_waitcnt_vscnt null, 0x0
	global_atomic_cmpswap_b64 v[6:7], v8, v[4:7], s[8:9] offset:24 glc
	s_waitcnt vmcnt(0)
	v_cmp_ne_u64_e32 vcc_lo, v[6:7], v[9:10]
	s_and_b32 exec_lo, exec_lo, vcc_lo
	s_cbranch_execz .LBB3_324
; %bb.322:
	s_mov_b32 s2, 0
.LBB3_323:                              ; =>This Inner Loop Header: Depth=1
	s_sleep 1
	global_store_b64 v[0:1], v[6:7], off
	s_waitcnt_vscnt null, 0x0
	global_atomic_cmpswap_b64 v[9:10], v8, v[4:7], s[8:9] offset:24 glc
	s_waitcnt vmcnt(0)
	v_cmp_eq_u64_e32 vcc_lo, v[9:10], v[6:7]
	v_dual_mov_b32 v6, v9 :: v_dual_mov_b32 v7, v10
	s_or_b32 s2, vcc_lo, s2
	s_delay_alu instid0(SALU_CYCLE_1)
	s_and_not1_b32 exec_lo, exec_lo, s2
	s_cbranch_execnz .LBB3_323
.LBB3_324:
	s_or_b32 exec_lo, exec_lo, s3
.LBB3_325:
	v_readfirstlane_b32 s2, v33
	s_waitcnt vmcnt(0)
	v_mov_b32_e32 v0, 0
	v_mov_b32_e32 v1, 0
	s_delay_alu instid0(VALU_DEP_3) | instskip(NEXT) | instid1(VALU_DEP_1)
	v_cmp_eq_u32_e64 s2, s2, v33
	s_and_saveexec_b32 s3, s2
	s_cbranch_execz .LBB3_331
; %bb.326:
	v_mov_b32_e32 v4, 0
	s_mov_b32 s4, exec_lo
	global_load_b64 v[7:8], v4, s[8:9] offset:24 glc
	s_waitcnt vmcnt(0)
	buffer_gl1_inv
	buffer_gl0_inv
	s_clause 0x1
	global_load_b64 v[0:1], v4, s[8:9] offset:40
	global_load_b64 v[5:6], v4, s[8:9]
	s_waitcnt vmcnt(1)
	v_and_b32_e32 v1, v1, v8
	v_and_b32_e32 v0, v0, v7
	s_delay_alu instid0(VALU_DEP_2) | instskip(NEXT) | instid1(VALU_DEP_2)
	v_mul_lo_u32 v1, v1, 24
	v_mul_hi_u32 v9, v0, 24
	v_mul_lo_u32 v0, v0, 24
	s_delay_alu instid0(VALU_DEP_2) | instskip(SKIP_1) | instid1(VALU_DEP_2)
	v_add_nc_u32_e32 v1, v9, v1
	s_waitcnt vmcnt(0)
	v_add_co_u32 v0, vcc_lo, v5, v0
	s_delay_alu instid0(VALU_DEP_2)
	v_add_co_ci_u32_e32 v1, vcc_lo, v6, v1, vcc_lo
	global_load_b64 v[5:6], v[0:1], off glc
	s_waitcnt vmcnt(0)
	global_atomic_cmpswap_b64 v[0:1], v4, v[5:8], s[8:9] offset:24 glc
	s_waitcnt vmcnt(0)
	buffer_gl1_inv
	buffer_gl0_inv
	v_cmpx_ne_u64_e64 v[0:1], v[7:8]
	s_cbranch_execz .LBB3_330
; %bb.327:
	s_mov_b32 s5, 0
	.p2align	6
.LBB3_328:                              ; =>This Inner Loop Header: Depth=1
	s_sleep 1
	s_clause 0x1
	global_load_b64 v[5:6], v4, s[8:9] offset:40
	global_load_b64 v[9:10], v4, s[8:9]
	v_dual_mov_b32 v8, v1 :: v_dual_mov_b32 v7, v0
	s_waitcnt vmcnt(1)
	s_delay_alu instid0(VALU_DEP_1) | instskip(SKIP_1) | instid1(VALU_DEP_1)
	v_and_b32_e32 v5, v5, v7
	s_waitcnt vmcnt(0)
	v_mad_u64_u32 v[0:1], null, v5, 24, v[9:10]
	v_and_b32_e32 v9, v6, v8
	s_delay_alu instid0(VALU_DEP_1) | instskip(NEXT) | instid1(VALU_DEP_1)
	v_mad_u64_u32 v[5:6], null, v9, 24, v[1:2]
	v_mov_b32_e32 v1, v5
	global_load_b64 v[5:6], v[0:1], off glc
	s_waitcnt vmcnt(0)
	global_atomic_cmpswap_b64 v[0:1], v4, v[5:8], s[8:9] offset:24 glc
	s_waitcnt vmcnt(0)
	buffer_gl1_inv
	buffer_gl0_inv
	v_cmp_eq_u64_e32 vcc_lo, v[0:1], v[7:8]
	s_or_b32 s5, vcc_lo, s5
	s_delay_alu instid0(SALU_CYCLE_1)
	s_and_not1_b32 exec_lo, exec_lo, s5
	s_cbranch_execnz .LBB3_328
; %bb.329:
	s_or_b32 exec_lo, exec_lo, s5
.LBB3_330:
	s_delay_alu instid0(SALU_CYCLE_1)
	s_or_b32 exec_lo, exec_lo, s4
.LBB3_331:
	s_delay_alu instid0(SALU_CYCLE_1)
	s_or_b32 exec_lo, exec_lo, s3
	v_mov_b32_e32 v5, 0
	v_readfirstlane_b32 s4, v0
	v_readfirstlane_b32 s5, v1
	s_mov_b32 s3, exec_lo
	s_clause 0x1
	global_load_b64 v[10:11], v5, s[8:9] offset:40
	global_load_b128 v[6:9], v5, s[8:9]
	s_waitcnt vmcnt(1)
	v_readfirstlane_b32 s10, v10
	v_readfirstlane_b32 s11, v11
	s_delay_alu instid0(VALU_DEP_1) | instskip(NEXT) | instid1(SALU_CYCLE_1)
	s_and_b64 s[10:11], s[4:5], s[10:11]
	s_mul_i32 s12, s11, 24
	s_mul_hi_u32 s13, s10, 24
	s_mul_i32 s14, s10, 24
	s_add_i32 s13, s13, s12
	s_waitcnt vmcnt(0)
	v_add_co_u32 v10, vcc_lo, v6, s14
	v_add_co_ci_u32_e32 v11, vcc_lo, s13, v7, vcc_lo
	s_and_saveexec_b32 s12, s2
	s_cbranch_execz .LBB3_333
; %bb.332:
	v_dual_mov_b32 v4, s3 :: v_dual_mov_b32 v15, 1
	v_dual_mov_b32 v14, 2 :: v_dual_mov_b32 v13, v5
	s_delay_alu instid0(VALU_DEP_2)
	v_mov_b32_e32 v12, v4
	global_store_b128 v[10:11], v[12:15], off offset:8
.LBB3_333:
	s_or_b32 exec_lo, exec_lo, s12
	s_mul_i32 s3, s18, s20
	s_lshl_b64 s[10:11], s[10:11], 12
	s_sub_i32 s3, s23, s3
	s_add_i32 s12, s18, 1
	s_sub_i32 s13, s3, s20
	s_cmp_ge_u32 s3, s20
	v_add_co_u32 v0, vcc_lo, v8, s10
	s_cselect_b32 s12, s12, s18
	s_cselect_b32 s3, s13, s3
	s_add_i32 s13, s12, 1
	s_cmp_ge_u32 s3, s20
	v_add_co_ci_u32_e32 v1, vcc_lo, s11, v9, vcc_lo
	s_cselect_b32 s3, s13, s12
	s_mov_b32 s12, 0
	v_add_co_u32 v8, vcc_lo, v0, v31
	s_mov_b32 s13, s12
	s_mov_b32 s14, s12
	;; [unrolled: 1-line block ×3, first 2 shown]
	v_and_or_b32 v2, 0xffffff1f, v2, 32
	v_mov_b32_e32 v4, s3
	v_readfirstlane_b32 s10, v0
	v_readfirstlane_b32 s11, v1
	v_dual_mov_b32 v12, s12 :: v_dual_mov_b32 v15, s15
	v_add_co_ci_u32_e32 v9, vcc_lo, 0, v1, vcc_lo
	v_dual_mov_b32 v13, s13 :: v_dual_mov_b32 v14, s14
	s_clause 0x3
	global_store_b128 v31, v[2:5], s[10:11]
	global_store_b128 v31, v[12:15], s[10:11] offset:16
	global_store_b128 v31, v[12:15], s[10:11] offset:32
	global_store_b128 v31, v[12:15], s[10:11] offset:48
	s_and_saveexec_b32 s3, s2
	s_cbranch_execz .LBB3_341
; %bb.334:
	v_dual_mov_b32 v12, 0 :: v_dual_mov_b32 v13, s4
	v_mov_b32_e32 v14, s5
	s_clause 0x1
	global_load_b64 v[15:16], v12, s[8:9] offset:32 glc
	global_load_b64 v[0:1], v12, s[8:9] offset:40
	s_waitcnt vmcnt(0)
	v_readfirstlane_b32 s10, v0
	v_readfirstlane_b32 s11, v1
	s_delay_alu instid0(VALU_DEP_1) | instskip(NEXT) | instid1(SALU_CYCLE_1)
	s_and_b64 s[10:11], s[10:11], s[4:5]
	s_mul_i32 s11, s11, 24
	s_mul_hi_u32 s12, s10, 24
	s_mul_i32 s10, s10, 24
	s_add_i32 s12, s12, s11
	v_add_co_u32 v4, vcc_lo, v6, s10
	v_add_co_ci_u32_e32 v5, vcc_lo, s12, v7, vcc_lo
	s_mov_b32 s10, exec_lo
	global_store_b64 v[4:5], v[15:16], off
	s_waitcnt_vscnt null, 0x0
	global_atomic_cmpswap_b64 v[2:3], v12, v[13:16], s[8:9] offset:32 glc
	s_waitcnt vmcnt(0)
	v_cmpx_ne_u64_e64 v[2:3], v[15:16]
	s_cbranch_execz .LBB3_337
; %bb.335:
	s_mov_b32 s11, 0
.LBB3_336:                              ; =>This Inner Loop Header: Depth=1
	v_dual_mov_b32 v0, s4 :: v_dual_mov_b32 v1, s5
	s_sleep 1
	global_store_b64 v[4:5], v[2:3], off
	s_waitcnt_vscnt null, 0x0
	global_atomic_cmpswap_b64 v[0:1], v12, v[0:3], s[8:9] offset:32 glc
	s_waitcnt vmcnt(0)
	v_cmp_eq_u64_e32 vcc_lo, v[0:1], v[2:3]
	v_dual_mov_b32 v3, v1 :: v_dual_mov_b32 v2, v0
	s_or_b32 s11, vcc_lo, s11
	s_delay_alu instid0(SALU_CYCLE_1)
	s_and_not1_b32 exec_lo, exec_lo, s11
	s_cbranch_execnz .LBB3_336
.LBB3_337:
	s_or_b32 exec_lo, exec_lo, s10
	v_mov_b32_e32 v3, 0
	s_mov_b32 s11, exec_lo
	s_mov_b32 s10, exec_lo
	v_mbcnt_lo_u32_b32 v2, s11, 0
	global_load_b64 v[0:1], v3, s[8:9] offset:16
	v_cmpx_eq_u32_e32 0, v2
	s_cbranch_execz .LBB3_339
; %bb.338:
	s_bcnt1_i32_b32 s11, s11
	s_delay_alu instid0(SALU_CYCLE_1)
	v_mov_b32_e32 v2, s11
	s_waitcnt vmcnt(0)
	global_atomic_add_u64 v[0:1], v[2:3], off offset:8
.LBB3_339:
	s_or_b32 exec_lo, exec_lo, s10
	s_waitcnt vmcnt(0)
	global_load_b64 v[2:3], v[0:1], off offset:16
	s_waitcnt vmcnt(0)
	v_cmp_eq_u64_e32 vcc_lo, 0, v[2:3]
	s_cbranch_vccnz .LBB3_341
; %bb.340:
	global_load_b32 v0, v[0:1], off offset:24
	s_waitcnt vmcnt(0)
	v_dual_mov_b32 v1, 0 :: v_dual_and_b32 v4, 0xffffff, v0
	s_waitcnt_vscnt null, 0x0
	global_store_b64 v[2:3], v[0:1], off
	v_readfirstlane_b32 m0, v4
	s_sendmsg sendmsg(MSG_INTERRUPT)
.LBB3_341:
	s_or_b32 exec_lo, exec_lo, s3
	s_branch .LBB3_345
	.p2align	6
.LBB3_342:                              ;   in Loop: Header=BB3_345 Depth=1
	s_or_b32 exec_lo, exec_lo, s3
	s_delay_alu instid0(VALU_DEP_1) | instskip(NEXT) | instid1(VALU_DEP_1)
	v_readfirstlane_b32 s3, v0
	s_cmp_eq_u32 s3, 0
	s_cbranch_scc1 .LBB3_344
; %bb.343:                              ;   in Loop: Header=BB3_345 Depth=1
	s_sleep 1
	s_cbranch_execnz .LBB3_345
	s_branch .LBB3_347
	.p2align	6
.LBB3_344:
	s_branch .LBB3_347
.LBB3_345:                              ; =>This Inner Loop Header: Depth=1
	v_mov_b32_e32 v0, 1
	s_and_saveexec_b32 s3, s2
	s_cbranch_execz .LBB3_342
; %bb.346:                              ;   in Loop: Header=BB3_345 Depth=1
	global_load_b32 v0, v[10:11], off offset:20 glc
	s_waitcnt vmcnt(0)
	buffer_gl1_inv
	buffer_gl0_inv
	v_and_b32_e32 v0, 1, v0
	s_branch .LBB3_342
.LBB3_347:
	global_load_b64 v[0:1], v[8:9], off
	s_and_saveexec_b32 s3, s2
	s_cbranch_execz .LBB3_351
; %bb.348:
	v_mov_b32_e32 v8, 0
	s_clause 0x2
	global_load_b64 v[4:5], v8, s[8:9] offset:40
	global_load_b64 v[9:10], v8, s[8:9] offset:24 glc
	global_load_b64 v[6:7], v8, s[8:9]
	s_waitcnt vmcnt(2)
	v_add_co_u32 v11, vcc_lo, v4, 1
	v_add_co_ci_u32_e32 v12, vcc_lo, 0, v5, vcc_lo
	s_delay_alu instid0(VALU_DEP_2) | instskip(NEXT) | instid1(VALU_DEP_2)
	v_add_co_u32 v2, vcc_lo, v11, s4
	v_add_co_ci_u32_e32 v3, vcc_lo, s5, v12, vcc_lo
	s_delay_alu instid0(VALU_DEP_1) | instskip(SKIP_1) | instid1(VALU_DEP_1)
	v_cmp_eq_u64_e32 vcc_lo, 0, v[2:3]
	v_dual_cndmask_b32 v3, v3, v12 :: v_dual_cndmask_b32 v2, v2, v11
	v_and_b32_e32 v5, v3, v5
	s_delay_alu instid0(VALU_DEP_2) | instskip(NEXT) | instid1(VALU_DEP_2)
	v_and_b32_e32 v4, v2, v4
	v_mul_lo_u32 v5, v5, 24
	s_delay_alu instid0(VALU_DEP_2) | instskip(SKIP_1) | instid1(VALU_DEP_2)
	v_mul_hi_u32 v11, v4, 24
	v_mul_lo_u32 v4, v4, 24
	v_add_nc_u32_e32 v5, v11, v5
	s_waitcnt vmcnt(0)
	s_delay_alu instid0(VALU_DEP_2) | instskip(SKIP_1) | instid1(VALU_DEP_3)
	v_add_co_u32 v6, vcc_lo, v6, v4
	v_mov_b32_e32 v4, v9
	v_add_co_ci_u32_e32 v7, vcc_lo, v7, v5, vcc_lo
	v_mov_b32_e32 v5, v10
	global_store_b64 v[6:7], v[9:10], off
	s_waitcnt_vscnt null, 0x0
	global_atomic_cmpswap_b64 v[4:5], v8, v[2:5], s[8:9] offset:24 glc
	s_waitcnt vmcnt(0)
	v_cmp_ne_u64_e32 vcc_lo, v[4:5], v[9:10]
	s_and_b32 exec_lo, exec_lo, vcc_lo
	s_cbranch_execz .LBB3_351
; %bb.349:
	s_mov_b32 s2, 0
.LBB3_350:                              ; =>This Inner Loop Header: Depth=1
	s_sleep 1
	global_store_b64 v[6:7], v[4:5], off
	s_waitcnt_vscnt null, 0x0
	global_atomic_cmpswap_b64 v[9:10], v8, v[2:5], s[8:9] offset:24 glc
	s_waitcnt vmcnt(0)
	v_cmp_eq_u64_e32 vcc_lo, v[9:10], v[4:5]
	v_dual_mov_b32 v4, v9 :: v_dual_mov_b32 v5, v10
	s_or_b32 s2, vcc_lo, s2
	s_delay_alu instid0(SALU_CYCLE_1)
	s_and_not1_b32 exec_lo, exec_lo, s2
	s_cbranch_execnz .LBB3_350
.LBB3_351:
	s_or_b32 exec_lo, exec_lo, s3
	v_readfirstlane_b32 s2, v33
	v_mov_b32_e32 v8, 0
	v_mov_b32_e32 v9, 0
	s_delay_alu instid0(VALU_DEP_3) | instskip(NEXT) | instid1(VALU_DEP_1)
	v_cmp_eq_u32_e64 s2, s2, v33
	s_and_saveexec_b32 s3, s2
	s_cbranch_execz .LBB3_357
; %bb.352:
	v_mov_b32_e32 v2, 0
	s_mov_b32 s4, exec_lo
	global_load_b64 v[5:6], v2, s[8:9] offset:24 glc
	s_waitcnt vmcnt(0)
	buffer_gl1_inv
	buffer_gl0_inv
	s_clause 0x1
	global_load_b64 v[3:4], v2, s[8:9] offset:40
	global_load_b64 v[7:8], v2, s[8:9]
	s_waitcnt vmcnt(1)
	v_and_b32_e32 v3, v3, v5
	v_and_b32_e32 v4, v4, v6
	s_delay_alu instid0(VALU_DEP_2) | instskip(NEXT) | instid1(VALU_DEP_2)
	v_mul_hi_u32 v9, v3, 24
	v_mul_lo_u32 v4, v4, 24
	v_mul_lo_u32 v3, v3, 24
	s_delay_alu instid0(VALU_DEP_2) | instskip(SKIP_1) | instid1(VALU_DEP_2)
	v_add_nc_u32_e32 v4, v9, v4
	s_waitcnt vmcnt(0)
	v_add_co_u32 v3, vcc_lo, v7, v3
	s_delay_alu instid0(VALU_DEP_2)
	v_add_co_ci_u32_e32 v4, vcc_lo, v8, v4, vcc_lo
	global_load_b64 v[3:4], v[3:4], off glc
	s_waitcnt vmcnt(0)
	global_atomic_cmpswap_b64 v[8:9], v2, v[3:6], s[8:9] offset:24 glc
	s_waitcnt vmcnt(0)
	buffer_gl1_inv
	buffer_gl0_inv
	v_cmpx_ne_u64_e64 v[8:9], v[5:6]
	s_cbranch_execz .LBB3_356
; %bb.353:
	s_mov_b32 s5, 0
	.p2align	6
.LBB3_354:                              ; =>This Inner Loop Header: Depth=1
	s_sleep 1
	s_clause 0x1
	global_load_b64 v[3:4], v2, s[8:9] offset:40
	global_load_b64 v[10:11], v2, s[8:9]
	v_dual_mov_b32 v5, v8 :: v_dual_mov_b32 v6, v9
	s_waitcnt vmcnt(1)
	s_delay_alu instid0(VALU_DEP_1) | instskip(NEXT) | instid1(VALU_DEP_2)
	v_and_b32_e32 v3, v3, v5
	v_and_b32_e32 v4, v4, v6
	s_waitcnt vmcnt(0)
	s_delay_alu instid0(VALU_DEP_2) | instskip(NEXT) | instid1(VALU_DEP_1)
	v_mad_u64_u32 v[7:8], null, v3, 24, v[10:11]
	v_mov_b32_e32 v3, v8
	s_delay_alu instid0(VALU_DEP_1)
	v_mad_u64_u32 v[8:9], null, v4, 24, v[3:4]
	global_load_b64 v[3:4], v[7:8], off glc
	s_waitcnt vmcnt(0)
	global_atomic_cmpswap_b64 v[8:9], v2, v[3:6], s[8:9] offset:24 glc
	s_waitcnt vmcnt(0)
	buffer_gl1_inv
	buffer_gl0_inv
	v_cmp_eq_u64_e32 vcc_lo, v[8:9], v[5:6]
	s_or_b32 s5, vcc_lo, s5
	s_delay_alu instid0(SALU_CYCLE_1)
	s_and_not1_b32 exec_lo, exec_lo, s5
	s_cbranch_execnz .LBB3_354
; %bb.355:
	s_or_b32 exec_lo, exec_lo, s5
.LBB3_356:
	s_delay_alu instid0(SALU_CYCLE_1)
	s_or_b32 exec_lo, exec_lo, s4
.LBB3_357:
	s_delay_alu instid0(SALU_CYCLE_1)
	s_or_b32 exec_lo, exec_lo, s3
	v_mov_b32_e32 v3, 0
	v_readfirstlane_b32 s4, v8
	v_readfirstlane_b32 s5, v9
	s_mov_b32 s3, exec_lo
	s_clause 0x1
	global_load_b64 v[10:11], v3, s[8:9] offset:40
	global_load_b128 v[4:7], v3, s[8:9]
	s_waitcnt vmcnt(1)
	v_readfirstlane_b32 s10, v10
	v_readfirstlane_b32 s11, v11
	s_delay_alu instid0(VALU_DEP_1) | instskip(NEXT) | instid1(SALU_CYCLE_1)
	s_and_b64 s[10:11], s[4:5], s[10:11]
	s_mul_i32 s12, s11, 24
	s_mul_hi_u32 s13, s10, 24
	s_mul_i32 s14, s10, 24
	s_add_i32 s13, s13, s12
	s_waitcnt vmcnt(0)
	v_add_co_u32 v8, vcc_lo, v4, s14
	v_add_co_ci_u32_e32 v9, vcc_lo, s13, v5, vcc_lo
	s_and_saveexec_b32 s12, s2
	s_cbranch_execz .LBB3_359
; %bb.358:
	v_dual_mov_b32 v2, s3 :: v_dual_mov_b32 v13, 1
	v_dual_mov_b32 v12, 2 :: v_dual_mov_b32 v11, v3
	s_delay_alu instid0(VALU_DEP_2)
	v_mov_b32_e32 v10, v2
	global_store_b128 v[8:9], v[10:13], off offset:8
.LBB3_359:
	s_or_b32 exec_lo, exec_lo, s12
	s_lshl_b64 s[10:11], s[10:11], 12
	s_mov_b32 s12, 0
	v_add_co_u32 v6, vcc_lo, v6, s10
	v_add_co_ci_u32_e32 v7, vcc_lo, s11, v7, vcc_lo
	s_mov_b32 s13, s12
	s_mov_b32 s14, s12
	s_mov_b32 s15, s12
	v_and_or_b32 v0, 0xffffff1d, v0, 34
	v_mov_b32_e32 v2, s20
	v_readfirstlane_b32 s10, v6
	v_readfirstlane_b32 s11, v7
	v_dual_mov_b32 v10, s12 :: v_dual_mov_b32 v13, s15
	v_dual_mov_b32 v11, s13 :: v_dual_mov_b32 v12, s14
	s_clause 0x3
	global_store_b128 v31, v[0:3], s[10:11]
	global_store_b128 v31, v[10:13], s[10:11] offset:16
	global_store_b128 v31, v[10:13], s[10:11] offset:32
	;; [unrolled: 1-line block ×3, first 2 shown]
	s_and_saveexec_b32 s3, s2
	s_cbranch_execz .LBB3_367
; %bb.360:
	v_dual_mov_b32 v6, 0 :: v_dual_mov_b32 v11, s5
	v_mov_b32_e32 v10, s4
	s_clause 0x1
	global_load_b64 v[12:13], v6, s[8:9] offset:32 glc
	global_load_b64 v[0:1], v6, s[8:9] offset:40
	s_waitcnt vmcnt(0)
	v_readfirstlane_b32 s10, v0
	v_readfirstlane_b32 s11, v1
	s_delay_alu instid0(VALU_DEP_1) | instskip(NEXT) | instid1(SALU_CYCLE_1)
	s_and_b64 s[10:11], s[10:11], s[4:5]
	s_mul_i32 s11, s11, 24
	s_mul_hi_u32 s12, s10, 24
	s_mul_i32 s10, s10, 24
	s_add_i32 s12, s12, s11
	v_add_co_u32 v4, vcc_lo, v4, s10
	v_add_co_ci_u32_e32 v5, vcc_lo, s12, v5, vcc_lo
	s_mov_b32 s10, exec_lo
	global_store_b64 v[4:5], v[12:13], off
	s_waitcnt_vscnt null, 0x0
	global_atomic_cmpswap_b64 v[2:3], v6, v[10:13], s[8:9] offset:32 glc
	s_waitcnt vmcnt(0)
	v_cmpx_ne_u64_e64 v[2:3], v[12:13]
	s_cbranch_execz .LBB3_363
; %bb.361:
	s_mov_b32 s11, 0
.LBB3_362:                              ; =>This Inner Loop Header: Depth=1
	v_dual_mov_b32 v0, s4 :: v_dual_mov_b32 v1, s5
	s_sleep 1
	global_store_b64 v[4:5], v[2:3], off
	s_waitcnt_vscnt null, 0x0
	global_atomic_cmpswap_b64 v[0:1], v6, v[0:3], s[8:9] offset:32 glc
	s_waitcnt vmcnt(0)
	v_cmp_eq_u64_e32 vcc_lo, v[0:1], v[2:3]
	v_dual_mov_b32 v3, v1 :: v_dual_mov_b32 v2, v0
	s_or_b32 s11, vcc_lo, s11
	s_delay_alu instid0(SALU_CYCLE_1)
	s_and_not1_b32 exec_lo, exec_lo, s11
	s_cbranch_execnz .LBB3_362
.LBB3_363:
	s_or_b32 exec_lo, exec_lo, s10
	v_mov_b32_e32 v3, 0
	s_mov_b32 s11, exec_lo
	s_mov_b32 s10, exec_lo
	v_mbcnt_lo_u32_b32 v2, s11, 0
	global_load_b64 v[0:1], v3, s[8:9] offset:16
	v_cmpx_eq_u32_e32 0, v2
	s_cbranch_execz .LBB3_365
; %bb.364:
	s_bcnt1_i32_b32 s11, s11
	s_delay_alu instid0(SALU_CYCLE_1)
	v_mov_b32_e32 v2, s11
	s_waitcnt vmcnt(0)
	global_atomic_add_u64 v[0:1], v[2:3], off offset:8
.LBB3_365:
	s_or_b32 exec_lo, exec_lo, s10
	s_waitcnt vmcnt(0)
	global_load_b64 v[2:3], v[0:1], off offset:16
	s_waitcnt vmcnt(0)
	v_cmp_eq_u64_e32 vcc_lo, 0, v[2:3]
	s_cbranch_vccnz .LBB3_367
; %bb.366:
	global_load_b32 v0, v[0:1], off offset:24
	s_waitcnt vmcnt(0)
	v_dual_mov_b32 v1, 0 :: v_dual_and_b32 v4, 0xffffff, v0
	s_waitcnt_vscnt null, 0x0
	global_store_b64 v[2:3], v[0:1], off
	v_readfirstlane_b32 m0, v4
	s_sendmsg sendmsg(MSG_INTERRUPT)
.LBB3_367:
	s_or_b32 exec_lo, exec_lo, s3
	s_branch .LBB3_371
	.p2align	6
.LBB3_368:                              ;   in Loop: Header=BB3_371 Depth=1
	s_or_b32 exec_lo, exec_lo, s3
	s_delay_alu instid0(VALU_DEP_1) | instskip(NEXT) | instid1(VALU_DEP_1)
	v_readfirstlane_b32 s3, v0
	s_cmp_eq_u32 s3, 0
	s_cbranch_scc1 .LBB3_370
; %bb.369:                              ;   in Loop: Header=BB3_371 Depth=1
	s_sleep 1
	s_cbranch_execnz .LBB3_371
	s_branch .LBB3_373
	.p2align	6
.LBB3_370:
	s_branch .LBB3_373
.LBB3_371:                              ; =>This Inner Loop Header: Depth=1
	v_mov_b32_e32 v0, 1
	s_and_saveexec_b32 s3, s2
	s_cbranch_execz .LBB3_368
; %bb.372:                              ;   in Loop: Header=BB3_371 Depth=1
	global_load_b32 v0, v[8:9], off offset:20 glc
	s_waitcnt vmcnt(0)
	buffer_gl1_inv
	buffer_gl0_inv
	v_and_b32_e32 v0, 1, v0
	s_branch .LBB3_368
.LBB3_373:
	s_and_b32 exec_lo, exec_lo, s2
	s_cbranch_execz .LBB3_377
; %bb.374:
	v_mov_b32_e32 v6, 0
	s_clause 0x2
	global_load_b64 v[2:3], v6, s[8:9] offset:40
	global_load_b64 v[7:8], v6, s[8:9] offset:24 glc
	global_load_b64 v[4:5], v6, s[8:9]
	s_waitcnt vmcnt(2)
	v_add_co_u32 v9, vcc_lo, v2, 1
	v_add_co_ci_u32_e32 v10, vcc_lo, 0, v3, vcc_lo
	s_delay_alu instid0(VALU_DEP_2) | instskip(NEXT) | instid1(VALU_DEP_2)
	v_add_co_u32 v0, vcc_lo, v9, s4
	v_add_co_ci_u32_e32 v1, vcc_lo, s5, v10, vcc_lo
	s_delay_alu instid0(VALU_DEP_1) | instskip(SKIP_1) | instid1(VALU_DEP_1)
	v_cmp_eq_u64_e32 vcc_lo, 0, v[0:1]
	v_dual_cndmask_b32 v1, v1, v10 :: v_dual_cndmask_b32 v0, v0, v9
	v_and_b32_e32 v3, v1, v3
	s_delay_alu instid0(VALU_DEP_2) | instskip(NEXT) | instid1(VALU_DEP_2)
	v_and_b32_e32 v2, v0, v2
	v_mul_lo_u32 v3, v3, 24
	s_delay_alu instid0(VALU_DEP_2) | instskip(SKIP_1) | instid1(VALU_DEP_2)
	v_mul_hi_u32 v9, v2, 24
	v_mul_lo_u32 v2, v2, 24
	v_add_nc_u32_e32 v3, v9, v3
	s_waitcnt vmcnt(0)
	s_delay_alu instid0(VALU_DEP_2) | instskip(SKIP_1) | instid1(VALU_DEP_3)
	v_add_co_u32 v4, vcc_lo, v4, v2
	v_mov_b32_e32 v2, v7
	v_add_co_ci_u32_e32 v5, vcc_lo, v5, v3, vcc_lo
	v_mov_b32_e32 v3, v8
	global_store_b64 v[4:5], v[7:8], off
	s_waitcnt_vscnt null, 0x0
	global_atomic_cmpswap_b64 v[2:3], v6, v[0:3], s[8:9] offset:24 glc
	s_waitcnt vmcnt(0)
	v_cmp_ne_u64_e32 vcc_lo, v[2:3], v[7:8]
	s_and_b32 exec_lo, exec_lo, vcc_lo
	s_cbranch_execz .LBB3_377
; %bb.375:
	s_mov_b32 s2, 0
.LBB3_376:                              ; =>This Inner Loop Header: Depth=1
	s_sleep 1
	global_store_b64 v[4:5], v[2:3], off
	s_waitcnt_vscnt null, 0x0
	global_atomic_cmpswap_b64 v[7:8], v6, v[0:3], s[8:9] offset:24 glc
	s_waitcnt vmcnt(0)
	v_cmp_eq_u64_e32 vcc_lo, v[7:8], v[2:3]
	v_dual_mov_b32 v2, v7 :: v_dual_mov_b32 v3, v8
	s_or_b32 s2, vcc_lo, s2
	s_delay_alu instid0(SALU_CYCLE_1)
	s_and_not1_b32 exec_lo, exec_lo, s2
	s_cbranch_execnz .LBB3_376
.LBB3_377:
	s_or_b32 exec_lo, exec_lo, s25
	v_mov_b32_e32 v0, 0
	v_mov_b32_e32 v36, 0
	;; [unrolled: 1-line block ×3, first 2 shown]
	s_waitcnt lgkmcnt(0)
	s_bcnt1_i32_b32 s2, s20
	s_mov_b32 s18, 1
	s_cmp_lg_u32 s2, 1
	s_waitcnt_vscnt null, 0x0
	buffer_gl1_inv
	buffer_gl0_inv
	s_cbranch_scc1 .LBB3_412
; %bb.378:
	v_cvt_f32_u32_e32 v0, s20
	s_sub_i32 s2, 0, s20
	s_delay_alu instid0(VALU_DEP_1) | instskip(SKIP_2) | instid1(VALU_DEP_1)
	v_rcp_iflag_f32_e32 v0, v0
	s_waitcnt_depctr 0xfff
	v_mul_f32_e32 v0, 0x4f7ffffe, v0
	v_cvt_u32_f32_e32 v0, v0
	s_delay_alu instid0(VALU_DEP_1) | instskip(NEXT) | instid1(VALU_DEP_1)
	v_readfirstlane_b32 s5, v0
	s_mul_i32 s2, s2, s5
	s_delay_alu instid0(SALU_CYCLE_1) | instskip(NEXT) | instid1(SALU_CYCLE_1)
	s_mul_hi_u32 s2, s5, s2
	s_add_i32 s5, s5, s2
	s_bitcmp1_b32 s24, 0
	v_mul_hi_u32 v0, v32, s5
	s_cselect_b32 s4, -1, 0
	s_cmp_lg_u32 s20, 0
	s_cselect_b32 s8, -1, 0
	s_delay_alu instid0(VALU_DEP_1) | instskip(NEXT) | instid1(VALU_DEP_1)
	v_mul_lo_u32 v1, v0, s20
	v_sub_nc_u32_e32 v1, v32, v1
	s_delay_alu instid0(VALU_DEP_1) | instskip(SKIP_1) | instid1(VALU_DEP_1)
	v_subrev_nc_u32_e32 v2, s20, v1
	v_cmp_le_u32_e64 s2, s20, v1
	v_cndmask_b32_e64 v1, v1, v2, s2
	s_delay_alu instid0(VALU_DEP_1) | instskip(SKIP_1) | instid1(VALU_DEP_2)
	v_subrev_nc_u32_e32 v2, s20, v1
	v_cmp_le_u32_e32 vcc_lo, s20, v1
	v_cndmask_b32_e32 v1, v1, v2, vcc_lo
	s_delay_alu instid0(VALU_DEP_1) | instskip(NEXT) | instid1(VALU_DEP_1)
	v_sub_nc_u32_e32 v2, v32, v1
	v_cmp_gt_i32_e64 s3, 1, v2
	s_delay_alu instid0(VALU_DEP_1)
	s_and_b32 s8, s8, s3
	v_sub_co_ci_u32_e64 v2, s3, v32, v1, s4
	s_and_b32 s3, s4, s8
	s_bitcmp0_b32 s24, 1
	v_cndmask_b32_e64 v1, 0, 1, s3
	s_cbranch_scc1 .LBB3_380
; %bb.379:
	v_cmp_gt_i32_e64 s3, 1, v2
	s_delay_alu instid0(VALU_DEP_2) | instskip(NEXT) | instid1(VALU_DEP_1)
	v_cmp_gt_u32_e64 s4, s20, v1
	s_and_b32 s3, s3, s4
	s_delay_alu instid0(SALU_CYCLE_1) | instskip(NEXT) | instid1(VALU_DEP_1)
	v_cndmask_b32_e64 v3, 0, 2, s3
	v_or_b32_e32 v4, v3, v1
	v_add_co_ci_u32_e64 v3, s3, 0, v1, s3
	s_delay_alu instid0(VALU_DEP_2)
	v_dual_mov_b32 v1, v4 :: v_dual_add_nc_u32 v2, -1, v2
	s_bitcmp0_b32 s24, 2
	s_cbranch_scc0 .LBB3_381
	s_branch .LBB3_382
.LBB3_380:
	s_delay_alu instid0(VALU_DEP_1)
	v_mov_b32_e32 v3, v1
	s_bitcmp0_b32 s24, 2
	s_cbranch_scc1 .LBB3_382
.LBB3_381:
	s_delay_alu instid0(VALU_DEP_1) | instskip(NEXT) | instid1(VALU_DEP_2)
	v_cmp_gt_i32_e64 s3, 1, v2
	v_cmp_gt_u32_e64 s4, s20, v3
	v_add_nc_u32_e32 v2, -1, v2
	s_delay_alu instid0(VALU_DEP_2) | instskip(NEXT) | instid1(SALU_CYCLE_1)
	s_and_b32 s3, s3, s4
	v_cndmask_b32_e64 v4, 0, 4, s3
	v_add_co_ci_u32_e64 v3, s3, 0, v3, s3
	s_delay_alu instid0(VALU_DEP_2)
	v_or_b32_e32 v1, v4, v1
.LBB3_382:
	s_bitcmp0_b32 s24, 3
	s_cbranch_scc0 .LBB3_528
; %bb.383:
	s_bitcmp0_b32 s24, 4
	s_cbranch_scc0 .LBB3_529
.LBB3_384:
	s_bitcmp0_b32 s24, 5
	s_cbranch_scc0 .LBB3_530
.LBB3_385:
	s_bitcmp0_b32 s24, 6
	s_cbranch_scc0 .LBB3_531
.LBB3_386:
	s_bitcmp0_b32 s24, 7
	s_cbranch_scc0 .LBB3_532
.LBB3_387:
	s_bitcmp0_b32 s24, 8
	s_cbranch_scc0 .LBB3_533
.LBB3_388:
	s_bitcmp0_b32 s24, 9
	s_cbranch_scc0 .LBB3_534
.LBB3_389:
	s_bitcmp0_b32 s24, 10
	s_cbranch_scc0 .LBB3_535
.LBB3_390:
	s_bitcmp0_b32 s24, 11
	s_cbranch_scc0 .LBB3_536
.LBB3_391:
	s_bitcmp0_b32 s24, 12
	s_cbranch_scc0 .LBB3_537
.LBB3_392:
	s_bitcmp0_b32 s24, 13
	s_cbranch_scc0 .LBB3_538
.LBB3_393:
	s_bitcmp0_b32 s24, 14
	s_cbranch_scc0 .LBB3_539
.LBB3_394:
	s_bitcmp0_b32 s24, 15
	s_cbranch_scc0 .LBB3_540
.LBB3_395:
	s_bitcmp0_b32 s24, 16
	s_cbranch_scc0 .LBB3_541
.LBB3_396:
	s_bitcmp0_b32 s24, 17
	s_cbranch_scc0 .LBB3_542
.LBB3_397:
	s_bitcmp0_b32 s24, 18
	s_cbranch_scc0 .LBB3_543
.LBB3_398:
	s_bitcmp0_b32 s24, 19
	s_cbranch_scc0 .LBB3_544
.LBB3_399:
	s_bitcmp0_b32 s24, 20
	s_cbranch_scc0 .LBB3_545
.LBB3_400:
	s_bitcmp0_b32 s24, 21
	s_cbranch_scc0 .LBB3_546
.LBB3_401:
	s_bitcmp0_b32 s24, 22
	s_cbranch_scc0 .LBB3_547
.LBB3_402:
	s_bitcmp0_b32 s24, 23
	s_cbranch_scc0 .LBB3_548
.LBB3_403:
	s_bitcmp0_b32 s24, 24
	s_cbranch_scc0 .LBB3_549
.LBB3_404:
	s_bitcmp0_b32 s24, 25
	s_cbranch_scc0 .LBB3_550
.LBB3_405:
	s_bitcmp0_b32 s24, 26
	s_cbranch_scc0 .LBB3_551
.LBB3_406:
	s_bitcmp0_b32 s24, 27
	s_cbranch_scc0 .LBB3_552
.LBB3_407:
	s_bitcmp0_b32 s24, 28
	s_cbranch_scc0 .LBB3_553
.LBB3_408:
	s_bitcmp0_b32 s24, 29
	s_cbranch_scc0 .LBB3_554
.LBB3_409:
	s_bitcmp0_b32 s24, 30
	s_cbranch_scc1 .LBB3_411
.LBB3_410:
	v_cmp_gt_i32_e64 s3, 1, v2
	v_cmp_gt_u32_e64 s4, s20, v3
	v_add_nc_u32_e32 v2, -1, v2
	s_delay_alu instid0(VALU_DEP_2) | instskip(NEXT) | instid1(SALU_CYCLE_1)
	s_and_b32 s3, s3, s4
	v_cndmask_b32_e64 v4, 0, 2.0, s3
	v_add_co_ci_u32_e64 v3, s3, 0, v3, s3
	s_delay_alu instid0(VALU_DEP_2)
	v_or_b32_e32 v1, v4, v1
.LBB3_411:
	v_cmp_gt_i32_e64 s3, 1, v2
	s_cmp_lt_i32 s24, 0
	s_delay_alu instid0(VALU_DEP_3)
	v_cmp_gt_u32_e64 s4, s20, v3
	s_cselect_b32 s8, -1, 0
	v_add_nc_u32_e32 v2, 1, v0
	s_and_b32 s3, s8, s3
	s_add_i32 s8, s20, s23
	s_and_b32 s3, s3, s4
	s_add_i32 s8, s8, -1
	v_cndmask_b32_e64 v2, v0, v2, s2
	s_mul_hi_u32 s2, s8, s5
	v_cndmask_b32_e64 v3, 0, 0x80000000, s3
	s_mul_i32 s3, s2, s20
	s_add_i32 s4, s2, 1
	s_sub_i32 s3, s8, s3
	s_delay_alu instid0(VALU_DEP_1)
	v_or_b32_e32 v0, v3, v1
	v_add_nc_u32_e32 v1, 1, v2
	s_sub_i32 s5, s3, s20
	s_cmp_ge_u32 s3, s20
	s_cselect_b32 s2, s4, s2
	s_cselect_b32 s3, s5, s3
	v_bcnt_u32_b32 v36, v0, 0
	v_cndmask_b32_e32 v2, v2, v1, vcc_lo
	s_add_i32 s4, s2, 1
	s_cmp_ge_u32 s3, s20
	s_cselect_b32 s18, s4, s2
.LBB3_412:
	v_mbcnt_lo_u32_b32 v5, v0, 0
	v_mov_b32_e32 v35, v32
	s_mov_b32 s3, 0
	s_mov_b32 s2, exec_lo
	v_cmpx_lt_u32_e32 1, v36
	s_cbranch_execz .LBB3_418
; %bb.413:
	v_sub_nc_u32_e32 v0, v32, v5
	v_mov_b32_e32 v6, v36
	v_mov_b32_e32 v35, v32
	s_delay_alu instid0(VALU_DEP_3) | instskip(NEXT) | instid1(VALU_DEP_1)
	v_ashrrev_i32_e32 v1, 31, v0
	v_lshlrev_b64 v[3:4], 2, v[0:1]
	v_dual_mov_b32 v1, 0 :: v_dual_lshlrev_b32 v0, 2, v5
	s_delay_alu instid0(VALU_DEP_2) | instskip(NEXT) | instid1(VALU_DEP_3)
	v_add_co_u32 v3, vcc_lo, s22, v3
	v_add_co_ci_u32_e32 v4, vcc_lo, s21, v4, vcc_lo
	s_delay_alu instid0(VALU_DEP_2) | instskip(NEXT) | instid1(VALU_DEP_2)
	v_add_co_u32 v3, vcc_lo, v3, v0
	v_add_co_ci_u32_e32 v4, vcc_lo, 0, v4, vcc_lo
	s_branch .LBB3_415
	.p2align	6
.LBB3_414:                              ;   in Loop: Header=BB3_415 Depth=1
	s_or_b32 exec_lo, exec_lo, s4
	v_cmp_gt_u32_e32 vcc_lo, 4, v6
	v_mov_b32_e32 v6, v0
	buffer_gl1_inv
	buffer_gl0_inv
	s_or_b32 s3, vcc_lo, s3
	s_delay_alu instid0(SALU_CYCLE_1)
	s_and_not1_b32 exec_lo, exec_lo, s3
	s_cbranch_execz .LBB3_417
.LBB3_415:                              ; =>This Inner Loop Header: Depth=1
	v_lshrrev_b32_e32 v0, 1, v6
	s_mov_b32 s4, exec_lo
	flat_store_b32 v[3:4], v35
	s_waitcnt lgkmcnt(0)
	s_waitcnt_vscnt null, 0x0
	buffer_gl1_inv
	buffer_gl0_inv
	v_cmpx_lt_i32_e64 v5, v0
	s_cbranch_execz .LBB3_414
; %bb.416:                              ;   in Loop: Header=BB3_415 Depth=1
	v_lshlrev_b64 v[7:8], 2, v[0:1]
	s_delay_alu instid0(VALU_DEP_1) | instskip(NEXT) | instid1(VALU_DEP_2)
	v_add_co_u32 v7, vcc_lo, v3, v7
	v_add_co_ci_u32_e32 v8, vcc_lo, v4, v8, vcc_lo
	flat_load_b32 v7, v[7:8]
	s_waitcnt vmcnt(0) lgkmcnt(0)
	v_add_nc_u32_e32 v35, v7, v35
	s_branch .LBB3_414
.LBB3_417:
	s_or_b32 exec_lo, exec_lo, s3
.LBB3_418:
	s_delay_alu instid0(SALU_CYCLE_1) | instskip(SKIP_1) | instid1(VALU_DEP_1)
	s_or_b32 exec_lo, exec_lo, s2
	v_cmp_eq_u32_e64 s2, 0, v5
	s_and_b32 exec_lo, exec_lo, s2
	s_cbranch_execz .LBB3_688
; %bb.419:
	s_load_b64 s[6:7], s[6:7], 0x50
	v_mbcnt_lo_u32_b32 v34, -1, 0
	v_mov_b32_e32 v0, 0
	v_mov_b32_e32 v1, 0
	s_delay_alu instid0(VALU_DEP_3) | instskip(NEXT) | instid1(VALU_DEP_1)
	v_readfirstlane_b32 s3, v34
	v_cmp_eq_u32_e64 s3, s3, v34
	s_delay_alu instid0(VALU_DEP_1)
	s_and_saveexec_b32 s4, s3
	s_cbranch_execz .LBB3_425
; %bb.420:
	v_mov_b32_e32 v3, 0
	s_mov_b32 s5, exec_lo
	s_waitcnt lgkmcnt(0)
	global_load_b64 v[6:7], v3, s[6:7] offset:24 glc
	s_waitcnt vmcnt(0)
	buffer_gl1_inv
	buffer_gl0_inv
	s_clause 0x1
	global_load_b64 v[0:1], v3, s[6:7] offset:40
	global_load_b64 v[4:5], v3, s[6:7]
	s_waitcnt vmcnt(1)
	v_and_b32_e32 v0, v0, v6
	v_and_b32_e32 v1, v1, v7
	s_delay_alu instid0(VALU_DEP_2) | instskip(NEXT) | instid1(VALU_DEP_2)
	v_mul_hi_u32 v8, v0, 24
	v_mul_lo_u32 v1, v1, 24
	v_mul_lo_u32 v0, v0, 24
	s_delay_alu instid0(VALU_DEP_2) | instskip(SKIP_1) | instid1(VALU_DEP_2)
	v_add_nc_u32_e32 v1, v8, v1
	s_waitcnt vmcnt(0)
	v_add_co_u32 v0, vcc_lo, v4, v0
	s_delay_alu instid0(VALU_DEP_2)
	v_add_co_ci_u32_e32 v1, vcc_lo, v5, v1, vcc_lo
	global_load_b64 v[4:5], v[0:1], off glc
	s_waitcnt vmcnt(0)
	global_atomic_cmpswap_b64 v[0:1], v3, v[4:7], s[6:7] offset:24 glc
	s_waitcnt vmcnt(0)
	buffer_gl1_inv
	buffer_gl0_inv
	v_cmpx_ne_u64_e64 v[0:1], v[6:7]
	s_cbranch_execz .LBB3_424
; %bb.421:
	s_mov_b32 s8, 0
	.p2align	6
.LBB3_422:                              ; =>This Inner Loop Header: Depth=1
	s_sleep 1
	s_clause 0x1
	global_load_b64 v[4:5], v3, s[6:7] offset:40
	global_load_b64 v[8:9], v3, s[6:7]
	v_dual_mov_b32 v7, v1 :: v_dual_mov_b32 v6, v0
	s_waitcnt vmcnt(1)
	s_delay_alu instid0(VALU_DEP_1) | instskip(SKIP_1) | instid1(VALU_DEP_1)
	v_and_b32_e32 v4, v4, v6
	s_waitcnt vmcnt(0)
	v_mad_u64_u32 v[0:1], null, v4, 24, v[8:9]
	v_and_b32_e32 v8, v5, v7
	s_delay_alu instid0(VALU_DEP_1) | instskip(NEXT) | instid1(VALU_DEP_1)
	v_mad_u64_u32 v[4:5], null, v8, 24, v[1:2]
	v_mov_b32_e32 v1, v4
	global_load_b64 v[4:5], v[0:1], off glc
	s_waitcnt vmcnt(0)
	global_atomic_cmpswap_b64 v[0:1], v3, v[4:7], s[6:7] offset:24 glc
	s_waitcnt vmcnt(0)
	buffer_gl1_inv
	buffer_gl0_inv
	v_cmp_eq_u64_e32 vcc_lo, v[0:1], v[6:7]
	s_or_b32 s8, vcc_lo, s8
	s_delay_alu instid0(SALU_CYCLE_1)
	s_and_not1_b32 exec_lo, exec_lo, s8
	s_cbranch_execnz .LBB3_422
; %bb.423:
	s_or_b32 exec_lo, exec_lo, s8
.LBB3_424:
	s_delay_alu instid0(SALU_CYCLE_1)
	s_or_b32 exec_lo, exec_lo, s5
.LBB3_425:
	s_delay_alu instid0(SALU_CYCLE_1)
	s_or_b32 exec_lo, exec_lo, s4
	v_mov_b32_e32 v8, 0
	v_readfirstlane_b32 s4, v0
	v_readfirstlane_b32 s5, v1
	s_mov_b32 s10, exec_lo
	s_waitcnt lgkmcnt(0)
	s_clause 0x1
	global_load_b64 v[9:10], v8, s[6:7] offset:40
	global_load_b128 v[3:6], v8, s[6:7]
	s_waitcnt vmcnt(1)
	v_readfirstlane_b32 s8, v9
	v_readfirstlane_b32 s9, v10
	s_delay_alu instid0(VALU_DEP_1) | instskip(NEXT) | instid1(SALU_CYCLE_1)
	s_and_b64 s[8:9], s[4:5], s[8:9]
	s_mul_i32 s11, s9, 24
	s_mul_hi_u32 s12, s8, 24
	s_mul_i32 s13, s8, 24
	s_add_i32 s12, s12, s11
	s_waitcnt vmcnt(0)
	v_add_co_u32 v0, vcc_lo, v3, s13
	v_add_co_ci_u32_e32 v1, vcc_lo, s12, v4, vcc_lo
	s_and_saveexec_b32 s11, s3
	s_cbranch_execz .LBB3_427
; %bb.426:
	v_dual_mov_b32 v7, s10 :: v_dual_mov_b32 v10, 1
	v_mov_b32_e32 v9, 2
	global_store_b128 v[0:1], v[7:10], off offset:8
.LBB3_427:
	s_or_b32 exec_lo, exec_lo, s11
	s_lshl_b64 s[8:9], s[8:9], 12
	v_dual_mov_b32 v10, v8 :: v_dual_lshlrev_b32 v33, 6, v34
	v_add_co_u32 v5, vcc_lo, v5, s8
	v_add_co_ci_u32_e32 v6, vcc_lo, s9, v6, vcc_lo
	s_mov_b32 s8, 0
	s_delay_alu instid0(VALU_DEP_2)
	v_add_co_u32 v11, vcc_lo, v5, v33
	s_mov_b32 s11, s8
	s_mov_b32 s9, s8
	;; [unrolled: 1-line block ×3, first 2 shown]
	v_dual_mov_b32 v7, 33 :: v_dual_mov_b32 v16, s11
	v_dual_mov_b32 v9, v8 :: v_dual_mov_b32 v14, s9
	v_readfirstlane_b32 s12, v5
	v_readfirstlane_b32 s13, v6
	v_add_co_ci_u32_e32 v12, vcc_lo, 0, v6, vcc_lo
	v_mov_b32_e32 v15, s10
	v_mov_b32_e32 v13, s8
	s_clause 0x3
	global_store_b128 v33, v[7:10], s[12:13]
	global_store_b128 v33, v[13:16], s[12:13] offset:16
	global_store_b128 v33, v[13:16], s[12:13] offset:32
	;; [unrolled: 1-line block ×3, first 2 shown]
	s_and_saveexec_b32 s8, s3
	s_cbranch_execz .LBB3_435
; %bb.428:
	v_mov_b32_e32 v9, 0
	s_mov_b32 s9, exec_lo
	s_clause 0x1
	global_load_b64 v[15:16], v9, s[6:7] offset:32 glc
	global_load_b64 v[5:6], v9, s[6:7] offset:40
	v_dual_mov_b32 v14, s5 :: v_dual_mov_b32 v13, s4
	s_waitcnt vmcnt(0)
	v_and_b32_e32 v6, s5, v6
	v_and_b32_e32 v5, s4, v5
	s_delay_alu instid0(VALU_DEP_2) | instskip(NEXT) | instid1(VALU_DEP_2)
	v_mul_lo_u32 v6, v6, 24
	v_mul_hi_u32 v7, v5, 24
	v_mul_lo_u32 v5, v5, 24
	s_delay_alu instid0(VALU_DEP_2) | instskip(NEXT) | instid1(VALU_DEP_2)
	v_add_nc_u32_e32 v6, v7, v6
	v_add_co_u32 v7, vcc_lo, v3, v5
	s_delay_alu instid0(VALU_DEP_2)
	v_add_co_ci_u32_e32 v8, vcc_lo, v4, v6, vcc_lo
	global_store_b64 v[7:8], v[15:16], off
	s_waitcnt_vscnt null, 0x0
	global_atomic_cmpswap_b64 v[5:6], v9, v[13:16], s[6:7] offset:32 glc
	s_waitcnt vmcnt(0)
	v_cmpx_ne_u64_e64 v[5:6], v[15:16]
	s_cbranch_execz .LBB3_431
; %bb.429:
	s_mov_b32 s10, 0
.LBB3_430:                              ; =>This Inner Loop Header: Depth=1
	v_dual_mov_b32 v3, s4 :: v_dual_mov_b32 v4, s5
	s_sleep 1
	global_store_b64 v[7:8], v[5:6], off
	s_waitcnt_vscnt null, 0x0
	global_atomic_cmpswap_b64 v[3:4], v9, v[3:6], s[6:7] offset:32 glc
	s_waitcnt vmcnt(0)
	v_cmp_eq_u64_e32 vcc_lo, v[3:4], v[5:6]
	v_dual_mov_b32 v6, v4 :: v_dual_mov_b32 v5, v3
	s_or_b32 s10, vcc_lo, s10
	s_delay_alu instid0(SALU_CYCLE_1)
	s_and_not1_b32 exec_lo, exec_lo, s10
	s_cbranch_execnz .LBB3_430
.LBB3_431:
	s_or_b32 exec_lo, exec_lo, s9
	v_mov_b32_e32 v6, 0
	s_mov_b32 s10, exec_lo
	s_mov_b32 s9, exec_lo
	v_mbcnt_lo_u32_b32 v5, s10, 0
	global_load_b64 v[3:4], v6, s[6:7] offset:16
	v_cmpx_eq_u32_e32 0, v5
	s_cbranch_execz .LBB3_433
; %bb.432:
	s_bcnt1_i32_b32 s10, s10
	s_delay_alu instid0(SALU_CYCLE_1)
	v_mov_b32_e32 v5, s10
	s_waitcnt vmcnt(0)
	global_atomic_add_u64 v[3:4], v[5:6], off offset:8
.LBB3_433:
	s_or_b32 exec_lo, exec_lo, s9
	s_waitcnt vmcnt(0)
	global_load_b64 v[5:6], v[3:4], off offset:16
	s_waitcnt vmcnt(0)
	v_cmp_eq_u64_e32 vcc_lo, 0, v[5:6]
	s_cbranch_vccnz .LBB3_435
; %bb.434:
	global_load_b32 v3, v[3:4], off offset:24
	s_waitcnt vmcnt(0)
	v_dual_mov_b32 v4, 0 :: v_dual_and_b32 v7, 0xffffff, v3
	s_waitcnt_vscnt null, 0x0
	global_store_b64 v[5:6], v[3:4], off
	v_readfirstlane_b32 m0, v7
	s_sendmsg sendmsg(MSG_INTERRUPT)
.LBB3_435:
	s_or_b32 exec_lo, exec_lo, s8
	s_branch .LBB3_439
	.p2align	6
.LBB3_436:                              ;   in Loop: Header=BB3_439 Depth=1
	s_or_b32 exec_lo, exec_lo, s8
	s_delay_alu instid0(VALU_DEP_1) | instskip(NEXT) | instid1(VALU_DEP_1)
	v_readfirstlane_b32 s8, v3
	s_cmp_eq_u32 s8, 0
	s_cbranch_scc1 .LBB3_438
; %bb.437:                              ;   in Loop: Header=BB3_439 Depth=1
	s_sleep 1
	s_cbranch_execnz .LBB3_439
	s_branch .LBB3_441
	.p2align	6
.LBB3_438:
	s_branch .LBB3_441
.LBB3_439:                              ; =>This Inner Loop Header: Depth=1
	v_mov_b32_e32 v3, 1
	s_and_saveexec_b32 s8, s3
	s_cbranch_execz .LBB3_436
; %bb.440:                              ;   in Loop: Header=BB3_439 Depth=1
	global_load_b32 v3, v[0:1], off offset:20 glc
	s_waitcnt vmcnt(0)
	buffer_gl1_inv
	buffer_gl0_inv
	v_and_b32_e32 v3, 1, v3
	s_branch .LBB3_436
.LBB3_441:
	global_load_b64 v[3:4], v[11:12], off
	s_and_saveexec_b32 s8, s3
	s_cbranch_execz .LBB3_445
; %bb.442:
	v_mov_b32_e32 v9, 0
	s_clause 0x2
	global_load_b64 v[0:1], v9, s[6:7] offset:40
	global_load_b64 v[10:11], v9, s[6:7] offset:24 glc
	global_load_b64 v[7:8], v9, s[6:7]
	s_waitcnt vmcnt(2)
	v_add_co_u32 v12, vcc_lo, v0, 1
	v_add_co_ci_u32_e32 v13, vcc_lo, 0, v1, vcc_lo
	s_delay_alu instid0(VALU_DEP_2) | instskip(NEXT) | instid1(VALU_DEP_2)
	v_add_co_u32 v5, vcc_lo, v12, s4
	v_add_co_ci_u32_e32 v6, vcc_lo, s5, v13, vcc_lo
	s_delay_alu instid0(VALU_DEP_1) | instskip(SKIP_1) | instid1(VALU_DEP_1)
	v_cmp_eq_u64_e32 vcc_lo, 0, v[5:6]
	v_dual_cndmask_b32 v6, v6, v13 :: v_dual_cndmask_b32 v5, v5, v12
	v_and_b32_e32 v1, v6, v1
	s_delay_alu instid0(VALU_DEP_2) | instskip(NEXT) | instid1(VALU_DEP_2)
	v_and_b32_e32 v0, v5, v0
	v_mul_lo_u32 v1, v1, 24
	s_delay_alu instid0(VALU_DEP_2) | instskip(SKIP_1) | instid1(VALU_DEP_2)
	v_mul_hi_u32 v12, v0, 24
	v_mul_lo_u32 v0, v0, 24
	v_add_nc_u32_e32 v1, v12, v1
	s_waitcnt vmcnt(0)
	s_delay_alu instid0(VALU_DEP_2) | instskip(SKIP_1) | instid1(VALU_DEP_3)
	v_add_co_u32 v0, vcc_lo, v7, v0
	v_mov_b32_e32 v7, v10
	v_add_co_ci_u32_e32 v1, vcc_lo, v8, v1, vcc_lo
	v_mov_b32_e32 v8, v11
	global_store_b64 v[0:1], v[10:11], off
	s_waitcnt_vscnt null, 0x0
	global_atomic_cmpswap_b64 v[7:8], v9, v[5:8], s[6:7] offset:24 glc
	s_waitcnt vmcnt(0)
	v_cmp_ne_u64_e32 vcc_lo, v[7:8], v[10:11]
	s_and_b32 exec_lo, exec_lo, vcc_lo
	s_cbranch_execz .LBB3_445
; %bb.443:
	s_mov_b32 s3, 0
.LBB3_444:                              ; =>This Inner Loop Header: Depth=1
	s_sleep 1
	global_store_b64 v[0:1], v[7:8], off
	s_waitcnt_vscnt null, 0x0
	global_atomic_cmpswap_b64 v[10:11], v9, v[5:8], s[6:7] offset:24 glc
	s_waitcnt vmcnt(0)
	v_cmp_eq_u64_e32 vcc_lo, v[10:11], v[7:8]
	v_dual_mov_b32 v7, v10 :: v_dual_mov_b32 v8, v11
	s_or_b32 s3, vcc_lo, s3
	s_delay_alu instid0(SALU_CYCLE_1)
	s_and_not1_b32 exec_lo, exec_lo, s3
	s_cbranch_execnz .LBB3_444
.LBB3_445:
	s_or_b32 exec_lo, exec_lo, s8
	s_getpc_b64 s[4:5]
	s_add_u32 s4, s4, .str.2@rel32@lo+4
	s_addc_u32 s5, s5, .str.2@rel32@hi+12
	s_mov_b64 s[8:9], 0
	s_cmp_lg_u64 s[4:5], 0
	s_cselect_b32 s3, -1, 0
	s_cmp_eq_u64 s[4:5], 0
	s_cbranch_scc1 .LBB3_449
; %bb.446:
	v_mov_b32_e32 v0, 0
	s_getpc_b64 s[4:5]
	s_add_u32 s4, s4, .str.2@rel32@lo+3
	s_addc_u32 s5, s5, .str.2@rel32@hi+11
.LBB3_447:                              ; =>This Inner Loop Header: Depth=1
	global_load_u8 v1, v0, s[4:5] offset:1
	s_add_u32 s8, s4, 1
	s_addc_u32 s9, s5, 0
	s_delay_alu instid0(SALU_CYCLE_1)
	s_mov_b64 s[4:5], s[8:9]
	s_waitcnt vmcnt(0)
	v_cmp_ne_u16_e32 vcc_lo, 0, v1
	s_cbranch_vccnz .LBB3_447
; %bb.448:
	s_getpc_b64 s[4:5]
	s_add_u32 s4, s4, .str.2@rel32@lo+4
	s_addc_u32 s5, s5, .str.2@rel32@hi+12
	s_sub_u32 s4, s8, s4
	s_subb_u32 s5, s9, s5
	s_add_u32 s8, s4, 1
	s_addc_u32 s9, s5, 0
.LBB3_449:
	s_and_b32 vcc_lo, exec_lo, s3
	s_cbranch_vccz .LBB3_555
; %bb.450:
	s_waitcnt vmcnt(0)
	v_dual_mov_b32 v6, v4 :: v_dual_and_b32 v37, 2, v3
	v_dual_mov_b32 v9, 0 :: v_dual_mov_b32 v10, 2
	v_and_b32_e32 v5, -3, v3
	v_mov_b32_e32 v11, 1
	s_getpc_b64 s[10:11]
	s_add_u32 s10, s10, .str.2@rel32@lo+4
	s_addc_u32 s11, s11, .str.2@rel32@hi+12
	s_branch .LBB3_452
.LBB3_451:                              ;   in Loop: Header=BB3_452 Depth=1
	s_or_b32 exec_lo, exec_lo, s4
	s_sub_u32 s8, s8, s12
	s_subb_u32 s9, s9, s13
	s_add_u32 s10, s10, s12
	s_addc_u32 s11, s11, s13
	s_cmp_lg_u64 s[8:9], 0
	s_cbranch_scc0 .LBB3_527
.LBB3_452:                              ; =>This Loop Header: Depth=1
                                        ;     Child Loop BB3_461 Depth 2
                                        ;     Child Loop BB3_457 Depth 2
	;; [unrolled: 1-line block ×11, first 2 shown]
	v_cmp_lt_u64_e64 s3, s[8:9], 56
	v_cmp_gt_u64_e64 s4, s[8:9], 7
                                        ; implicit-def: $vgpr14_vgpr15
	s_delay_alu instid0(VALU_DEP_2) | instskip(SKIP_2) | instid1(VALU_DEP_1)
	s_and_b32 s3, s3, exec_lo
	s_cselect_b32 s13, s9, 0
	s_cselect_b32 s12, s8, 56
	s_and_b32 vcc_lo, exec_lo, s4
	s_mov_b32 s4, -1
                                        ; implicit-def: $sgpr3
	s_cbranch_vccz .LBB3_459
; %bb.453:                              ;   in Loop: Header=BB3_452 Depth=1
	s_and_not1_b32 vcc_lo, exec_lo, s4
	s_mov_b64 s[4:5], s[10:11]
	s_cbranch_vccz .LBB3_463
.LBB3_454:                              ;   in Loop: Header=BB3_452 Depth=1
	s_cmp_gt_u32 s3, 7
	s_cbranch_scc1 .LBB3_464
.LBB3_455:                              ;   in Loop: Header=BB3_452 Depth=1
	v_mov_b32_e32 v16, 0
	v_mov_b32_e32 v17, 0
	s_cmp_eq_u32 s3, 0
	s_cbranch_scc1 .LBB3_458
; %bb.456:                              ;   in Loop: Header=BB3_452 Depth=1
	s_mov_b64 s[14:15], 0
	s_mov_b64 s[16:17], 0
.LBB3_457:                              ;   Parent Loop BB3_452 Depth=1
                                        ; =>  This Inner Loop Header: Depth=2
	s_delay_alu instid0(SALU_CYCLE_1)
	s_add_u32 s22, s4, s16
	s_addc_u32 s23, s5, s17
	s_add_u32 s16, s16, 1
	global_load_u8 v0, v9, s[22:23]
	s_addc_u32 s17, s17, 0
	s_waitcnt vmcnt(0)
	v_and_b32_e32 v8, 0xffff, v0
	s_delay_alu instid0(VALU_DEP_1) | instskip(SKIP_3) | instid1(VALU_DEP_1)
	v_lshlrev_b64 v[0:1], s14, v[8:9]
	s_add_u32 s14, s14, 8
	s_addc_u32 s15, s15, 0
	s_cmp_lg_u32 s3, s16
	v_or_b32_e32 v16, v0, v16
	s_delay_alu instid0(VALU_DEP_2)
	v_or_b32_e32 v17, v1, v17
	s_cbranch_scc1 .LBB3_457
.LBB3_458:                              ;   in Loop: Header=BB3_452 Depth=1
	s_mov_b32 s19, 0
	s_cbranch_execz .LBB3_465
	s_branch .LBB3_466
.LBB3_459:                              ;   in Loop: Header=BB3_452 Depth=1
	v_mov_b32_e32 v14, 0
	v_mov_b32_e32 v15, 0
	s_cmp_eq_u64 s[8:9], 0
	s_mov_b64 s[4:5], 0
	s_cbranch_scc1 .LBB3_462
; %bb.460:                              ;   in Loop: Header=BB3_452 Depth=1
	v_mov_b32_e32 v14, 0
	v_mov_b32_e32 v15, 0
	s_lshl_b64 s[14:15], s[12:13], 3
	s_mov_b64 s[16:17], s[10:11]
.LBB3_461:                              ;   Parent Loop BB3_452 Depth=1
                                        ; =>  This Inner Loop Header: Depth=2
	global_load_u8 v0, v9, s[16:17]
	s_waitcnt vmcnt(0)
	v_and_b32_e32 v8, 0xffff, v0
	s_delay_alu instid0(VALU_DEP_1)
	v_lshlrev_b64 v[0:1], s4, v[8:9]
	s_add_u32 s4, s4, 8
	s_addc_u32 s5, s5, 0
	s_add_u32 s16, s16, 1
	s_addc_u32 s17, s17, 0
	s_cmp_lg_u32 s14, s4
	v_or_b32_e32 v14, v0, v14
	v_or_b32_e32 v15, v1, v15
	s_cbranch_scc1 .LBB3_461
.LBB3_462:                              ;   in Loop: Header=BB3_452 Depth=1
	s_mov_b32 s3, 0
	s_mov_b64 s[4:5], s[10:11]
	s_cbranch_execnz .LBB3_454
.LBB3_463:                              ;   in Loop: Header=BB3_452 Depth=1
	global_load_b64 v[14:15], v9, s[10:11]
	s_add_i32 s3, s12, -8
	s_add_u32 s4, s10, 8
	s_addc_u32 s5, s11, 0
	s_cmp_gt_u32 s3, 7
	s_cbranch_scc0 .LBB3_455
.LBB3_464:                              ;   in Loop: Header=BB3_452 Depth=1
                                        ; implicit-def: $vgpr16_vgpr17
                                        ; implicit-def: $sgpr19
.LBB3_465:                              ;   in Loop: Header=BB3_452 Depth=1
	global_load_b64 v[16:17], v9, s[4:5]
	s_add_i32 s19, s3, -8
	s_add_u32 s4, s4, 8
	s_addc_u32 s5, s5, 0
.LBB3_466:                              ;   in Loop: Header=BB3_452 Depth=1
	s_cmp_gt_u32 s19, 7
	s_cbranch_scc1 .LBB3_471
; %bb.467:                              ;   in Loop: Header=BB3_452 Depth=1
	v_mov_b32_e32 v18, 0
	v_mov_b32_e32 v19, 0
	s_cmp_eq_u32 s19, 0
	s_cbranch_scc1 .LBB3_470
; %bb.468:                              ;   in Loop: Header=BB3_452 Depth=1
	s_mov_b64 s[14:15], 0
	s_mov_b64 s[16:17], 0
.LBB3_469:                              ;   Parent Loop BB3_452 Depth=1
                                        ; =>  This Inner Loop Header: Depth=2
	s_delay_alu instid0(SALU_CYCLE_1)
	s_add_u32 s22, s4, s16
	s_addc_u32 s23, s5, s17
	s_add_u32 s16, s16, 1
	global_load_u8 v0, v9, s[22:23]
	s_addc_u32 s17, s17, 0
	s_waitcnt vmcnt(0)
	v_and_b32_e32 v8, 0xffff, v0
	s_delay_alu instid0(VALU_DEP_1) | instskip(SKIP_3) | instid1(VALU_DEP_1)
	v_lshlrev_b64 v[0:1], s14, v[8:9]
	s_add_u32 s14, s14, 8
	s_addc_u32 s15, s15, 0
	s_cmp_lg_u32 s19, s16
	v_or_b32_e32 v18, v0, v18
	s_delay_alu instid0(VALU_DEP_2)
	v_or_b32_e32 v19, v1, v19
	s_cbranch_scc1 .LBB3_469
.LBB3_470:                              ;   in Loop: Header=BB3_452 Depth=1
	s_mov_b32 s3, 0
	s_cbranch_execz .LBB3_472
	s_branch .LBB3_473
.LBB3_471:                              ;   in Loop: Header=BB3_452 Depth=1
                                        ; implicit-def: $sgpr3
.LBB3_472:                              ;   in Loop: Header=BB3_452 Depth=1
	global_load_b64 v[18:19], v9, s[4:5]
	s_add_i32 s3, s19, -8
	s_add_u32 s4, s4, 8
	s_addc_u32 s5, s5, 0
.LBB3_473:                              ;   in Loop: Header=BB3_452 Depth=1
	s_cmp_gt_u32 s3, 7
	s_cbranch_scc1 .LBB3_478
; %bb.474:                              ;   in Loop: Header=BB3_452 Depth=1
	v_mov_b32_e32 v20, 0
	v_mov_b32_e32 v21, 0
	s_cmp_eq_u32 s3, 0
	s_cbranch_scc1 .LBB3_477
; %bb.475:                              ;   in Loop: Header=BB3_452 Depth=1
	s_mov_b64 s[14:15], 0
	s_mov_b64 s[16:17], 0
.LBB3_476:                              ;   Parent Loop BB3_452 Depth=1
                                        ; =>  This Inner Loop Header: Depth=2
	s_delay_alu instid0(SALU_CYCLE_1)
	s_add_u32 s22, s4, s16
	s_addc_u32 s23, s5, s17
	s_add_u32 s16, s16, 1
	global_load_u8 v0, v9, s[22:23]
	s_addc_u32 s17, s17, 0
	s_waitcnt vmcnt(0)
	v_and_b32_e32 v8, 0xffff, v0
	s_delay_alu instid0(VALU_DEP_1) | instskip(SKIP_3) | instid1(VALU_DEP_1)
	v_lshlrev_b64 v[0:1], s14, v[8:9]
	s_add_u32 s14, s14, 8
	s_addc_u32 s15, s15, 0
	s_cmp_lg_u32 s3, s16
	v_or_b32_e32 v20, v0, v20
	s_delay_alu instid0(VALU_DEP_2)
	v_or_b32_e32 v21, v1, v21
	s_cbranch_scc1 .LBB3_476
.LBB3_477:                              ;   in Loop: Header=BB3_452 Depth=1
	s_mov_b32 s19, 0
	s_cbranch_execz .LBB3_479
	s_branch .LBB3_480
.LBB3_478:                              ;   in Loop: Header=BB3_452 Depth=1
                                        ; implicit-def: $vgpr20_vgpr21
                                        ; implicit-def: $sgpr19
.LBB3_479:                              ;   in Loop: Header=BB3_452 Depth=1
	global_load_b64 v[20:21], v9, s[4:5]
	s_add_i32 s19, s3, -8
	s_add_u32 s4, s4, 8
	s_addc_u32 s5, s5, 0
.LBB3_480:                              ;   in Loop: Header=BB3_452 Depth=1
	s_cmp_gt_u32 s19, 7
	s_cbranch_scc1 .LBB3_485
; %bb.481:                              ;   in Loop: Header=BB3_452 Depth=1
	v_mov_b32_e32 v22, 0
	v_mov_b32_e32 v23, 0
	s_cmp_eq_u32 s19, 0
	s_cbranch_scc1 .LBB3_484
; %bb.482:                              ;   in Loop: Header=BB3_452 Depth=1
	s_mov_b64 s[14:15], 0
	s_mov_b64 s[16:17], 0
.LBB3_483:                              ;   Parent Loop BB3_452 Depth=1
                                        ; =>  This Inner Loop Header: Depth=2
	s_delay_alu instid0(SALU_CYCLE_1)
	s_add_u32 s22, s4, s16
	s_addc_u32 s23, s5, s17
	s_add_u32 s16, s16, 1
	global_load_u8 v0, v9, s[22:23]
	s_addc_u32 s17, s17, 0
	s_waitcnt vmcnt(0)
	v_and_b32_e32 v8, 0xffff, v0
	s_delay_alu instid0(VALU_DEP_1) | instskip(SKIP_3) | instid1(VALU_DEP_1)
	v_lshlrev_b64 v[0:1], s14, v[8:9]
	s_add_u32 s14, s14, 8
	s_addc_u32 s15, s15, 0
	s_cmp_lg_u32 s19, s16
	v_or_b32_e32 v22, v0, v22
	s_delay_alu instid0(VALU_DEP_2)
	v_or_b32_e32 v23, v1, v23
	s_cbranch_scc1 .LBB3_483
.LBB3_484:                              ;   in Loop: Header=BB3_452 Depth=1
	s_mov_b32 s3, 0
	s_cbranch_execz .LBB3_486
	s_branch .LBB3_487
.LBB3_485:                              ;   in Loop: Header=BB3_452 Depth=1
                                        ; implicit-def: $sgpr3
.LBB3_486:                              ;   in Loop: Header=BB3_452 Depth=1
	global_load_b64 v[22:23], v9, s[4:5]
	s_add_i32 s3, s19, -8
	s_add_u32 s4, s4, 8
	s_addc_u32 s5, s5, 0
.LBB3_487:                              ;   in Loop: Header=BB3_452 Depth=1
	s_cmp_gt_u32 s3, 7
	s_cbranch_scc1 .LBB3_492
; %bb.488:                              ;   in Loop: Header=BB3_452 Depth=1
	v_mov_b32_e32 v24, 0
	v_mov_b32_e32 v25, 0
	s_cmp_eq_u32 s3, 0
	s_cbranch_scc1 .LBB3_491
; %bb.489:                              ;   in Loop: Header=BB3_452 Depth=1
	s_mov_b64 s[14:15], 0
	s_mov_b64 s[16:17], 0
.LBB3_490:                              ;   Parent Loop BB3_452 Depth=1
                                        ; =>  This Inner Loop Header: Depth=2
	s_delay_alu instid0(SALU_CYCLE_1)
	s_add_u32 s22, s4, s16
	s_addc_u32 s23, s5, s17
	s_add_u32 s16, s16, 1
	global_load_u8 v0, v9, s[22:23]
	s_addc_u32 s17, s17, 0
	s_waitcnt vmcnt(0)
	v_and_b32_e32 v8, 0xffff, v0
	s_delay_alu instid0(VALU_DEP_1) | instskip(SKIP_3) | instid1(VALU_DEP_1)
	v_lshlrev_b64 v[0:1], s14, v[8:9]
	s_add_u32 s14, s14, 8
	s_addc_u32 s15, s15, 0
	s_cmp_lg_u32 s3, s16
	v_or_b32_e32 v24, v0, v24
	s_delay_alu instid0(VALU_DEP_2)
	v_or_b32_e32 v25, v1, v25
	s_cbranch_scc1 .LBB3_490
.LBB3_491:                              ;   in Loop: Header=BB3_452 Depth=1
	s_mov_b32 s19, 0
	s_cbranch_execz .LBB3_493
	s_branch .LBB3_494
.LBB3_492:                              ;   in Loop: Header=BB3_452 Depth=1
                                        ; implicit-def: $vgpr24_vgpr25
                                        ; implicit-def: $sgpr19
.LBB3_493:                              ;   in Loop: Header=BB3_452 Depth=1
	global_load_b64 v[24:25], v9, s[4:5]
	s_add_i32 s19, s3, -8
	s_add_u32 s4, s4, 8
	s_addc_u32 s5, s5, 0
.LBB3_494:                              ;   in Loop: Header=BB3_452 Depth=1
	s_cmp_gt_u32 s19, 7
	s_cbranch_scc1 .LBB3_499
; %bb.495:                              ;   in Loop: Header=BB3_452 Depth=1
	v_mov_b32_e32 v26, 0
	v_mov_b32_e32 v27, 0
	s_cmp_eq_u32 s19, 0
	s_cbranch_scc1 .LBB3_498
; %bb.496:                              ;   in Loop: Header=BB3_452 Depth=1
	s_mov_b64 s[14:15], 0
	s_mov_b64 s[16:17], s[4:5]
.LBB3_497:                              ;   Parent Loop BB3_452 Depth=1
                                        ; =>  This Inner Loop Header: Depth=2
	global_load_u8 v0, v9, s[16:17]
	s_add_i32 s19, s19, -1
	s_waitcnt vmcnt(0)
	v_and_b32_e32 v8, 0xffff, v0
	s_delay_alu instid0(VALU_DEP_1)
	v_lshlrev_b64 v[0:1], s14, v[8:9]
	s_add_u32 s14, s14, 8
	s_addc_u32 s15, s15, 0
	s_add_u32 s16, s16, 1
	s_addc_u32 s17, s17, 0
	s_cmp_lg_u32 s19, 0
	v_or_b32_e32 v26, v0, v26
	v_or_b32_e32 v27, v1, v27
	s_cbranch_scc1 .LBB3_497
.LBB3_498:                              ;   in Loop: Header=BB3_452 Depth=1
	s_cbranch_execz .LBB3_500
	s_branch .LBB3_501
.LBB3_499:                              ;   in Loop: Header=BB3_452 Depth=1
.LBB3_500:                              ;   in Loop: Header=BB3_452 Depth=1
	global_load_b64 v[26:27], v9, s[4:5]
.LBB3_501:                              ;   in Loop: Header=BB3_452 Depth=1
	v_readfirstlane_b32 s3, v34
	v_mov_b32_e32 v0, 0
	v_mov_b32_e32 v1, 0
	s_delay_alu instid0(VALU_DEP_3) | instskip(NEXT) | instid1(VALU_DEP_1)
	v_cmp_eq_u32_e64 s3, s3, v34
	s_and_saveexec_b32 s4, s3
	s_cbranch_execz .LBB3_507
; %bb.502:                              ;   in Loop: Header=BB3_452 Depth=1
	global_load_b64 v[30:31], v9, s[6:7] offset:24 glc
	s_waitcnt vmcnt(0)
	buffer_gl1_inv
	buffer_gl0_inv
	s_clause 0x1
	global_load_b64 v[0:1], v9, s[6:7] offset:40
	global_load_b64 v[7:8], v9, s[6:7]
	s_mov_b32 s5, exec_lo
	s_waitcnt vmcnt(1)
	v_and_b32_e32 v1, v1, v31
	v_and_b32_e32 v0, v0, v30
	s_delay_alu instid0(VALU_DEP_2) | instskip(NEXT) | instid1(VALU_DEP_2)
	v_mul_lo_u32 v1, v1, 24
	v_mul_hi_u32 v12, v0, 24
	v_mul_lo_u32 v0, v0, 24
	s_delay_alu instid0(VALU_DEP_2) | instskip(SKIP_1) | instid1(VALU_DEP_2)
	v_add_nc_u32_e32 v1, v12, v1
	s_waitcnt vmcnt(0)
	v_add_co_u32 v0, vcc_lo, v7, v0
	s_delay_alu instid0(VALU_DEP_2)
	v_add_co_ci_u32_e32 v1, vcc_lo, v8, v1, vcc_lo
	global_load_b64 v[28:29], v[0:1], off glc
	s_waitcnt vmcnt(0)
	global_atomic_cmpswap_b64 v[0:1], v9, v[28:31], s[6:7] offset:24 glc
	s_waitcnt vmcnt(0)
	buffer_gl1_inv
	buffer_gl0_inv
	v_cmpx_ne_u64_e64 v[0:1], v[30:31]
	s_cbranch_execz .LBB3_506
; %bb.503:                              ;   in Loop: Header=BB3_452 Depth=1
	s_mov_b32 s14, 0
	.p2align	6
.LBB3_504:                              ;   Parent Loop BB3_452 Depth=1
                                        ; =>  This Inner Loop Header: Depth=2
	s_sleep 1
	s_clause 0x1
	global_load_b64 v[7:8], v9, s[6:7] offset:40
	global_load_b64 v[12:13], v9, s[6:7]
	v_dual_mov_b32 v31, v1 :: v_dual_mov_b32 v30, v0
	s_waitcnt vmcnt(1)
	s_delay_alu instid0(VALU_DEP_1) | instskip(SKIP_1) | instid1(VALU_DEP_1)
	v_and_b32_e32 v7, v7, v30
	s_waitcnt vmcnt(0)
	v_mad_u64_u32 v[0:1], null, v7, 24, v[12:13]
	v_and_b32_e32 v12, v8, v31
	s_delay_alu instid0(VALU_DEP_1) | instskip(NEXT) | instid1(VALU_DEP_1)
	v_mad_u64_u32 v[7:8], null, v12, 24, v[1:2]
	v_mov_b32_e32 v1, v7
	global_load_b64 v[28:29], v[0:1], off glc
	s_waitcnt vmcnt(0)
	global_atomic_cmpswap_b64 v[0:1], v9, v[28:31], s[6:7] offset:24 glc
	s_waitcnt vmcnt(0)
	buffer_gl1_inv
	buffer_gl0_inv
	v_cmp_eq_u64_e32 vcc_lo, v[0:1], v[30:31]
	s_or_b32 s14, vcc_lo, s14
	s_delay_alu instid0(SALU_CYCLE_1)
	s_and_not1_b32 exec_lo, exec_lo, s14
	s_cbranch_execnz .LBB3_504
; %bb.505:                              ;   in Loop: Header=BB3_452 Depth=1
	s_or_b32 exec_lo, exec_lo, s14
.LBB3_506:                              ;   in Loop: Header=BB3_452 Depth=1
	s_delay_alu instid0(SALU_CYCLE_1)
	s_or_b32 exec_lo, exec_lo, s5
.LBB3_507:                              ;   in Loop: Header=BB3_452 Depth=1
	s_delay_alu instid0(SALU_CYCLE_1)
	s_or_b32 exec_lo, exec_lo, s4
	s_clause 0x1
	global_load_b64 v[7:8], v9, s[6:7] offset:40
	global_load_b128 v[28:31], v9, s[6:7]
	v_readfirstlane_b32 s14, v0
	v_readfirstlane_b32 s15, v1
	s_mov_b32 s16, exec_lo
	s_waitcnt vmcnt(1)
	v_readfirstlane_b32 s4, v7
	v_readfirstlane_b32 s5, v8
	s_delay_alu instid0(VALU_DEP_1) | instskip(NEXT) | instid1(SALU_CYCLE_1)
	s_and_b64 s[4:5], s[14:15], s[4:5]
	s_mul_i32 s17, s5, 24
	s_mul_hi_u32 s19, s4, 24
	s_mul_i32 s21, s4, 24
	s_add_i32 s19, s19, s17
	s_waitcnt vmcnt(0)
	v_add_co_u32 v0, vcc_lo, v28, s21
	v_add_co_ci_u32_e32 v1, vcc_lo, s19, v29, vcc_lo
	s_and_saveexec_b32 s17, s3
	s_cbranch_execz .LBB3_509
; %bb.508:                              ;   in Loop: Header=BB3_452 Depth=1
	v_mov_b32_e32 v8, s16
	global_store_b128 v[0:1], v[8:11], off offset:8
.LBB3_509:                              ;   in Loop: Header=BB3_452 Depth=1
	s_or_b32 exec_lo, exec_lo, s17
	s_lshl_b64 s[4:5], s[4:5], 12
	v_cmp_gt_u64_e64 vcc_lo, s[8:9], 56
	v_or_b32_e32 v8, v5, v37
	v_add_co_u32 v30, s4, v30, s4
	s_delay_alu instid0(VALU_DEP_1)
	v_add_co_ci_u32_e64 v31, s4, s5, v31, s4
	s_lshl_b32 s4, s12, 2
	v_or_b32_e32 v7, 0, v6
	v_cndmask_b32_e32 v5, v8, v5, vcc_lo
	s_add_i32 s4, s4, 28
	v_readfirstlane_b32 s5, v31
	s_and_b32 s16, s4, 0x1e0
	v_cndmask_b32_e32 v13, v7, v6, vcc_lo
	v_readfirstlane_b32 s4, v30
	v_and_or_b32 v12, 0xffffff1f, v5, s16
	s_clause 0x3
	global_store_b128 v33, v[12:15], s[4:5]
	global_store_b128 v33, v[16:19], s[4:5] offset:16
	global_store_b128 v33, v[20:23], s[4:5] offset:32
	;; [unrolled: 1-line block ×3, first 2 shown]
	s_and_saveexec_b32 s4, s3
	s_cbranch_execz .LBB3_517
; %bb.510:                              ;   in Loop: Header=BB3_452 Depth=1
	s_clause 0x1
	global_load_b64 v[16:17], v9, s[6:7] offset:32 glc
	global_load_b64 v[5:6], v9, s[6:7] offset:40
	v_dual_mov_b32 v14, s14 :: v_dual_mov_b32 v15, s15
	s_waitcnt vmcnt(0)
	v_readfirstlane_b32 s16, v5
	v_readfirstlane_b32 s17, v6
	s_delay_alu instid0(VALU_DEP_1) | instskip(NEXT) | instid1(SALU_CYCLE_1)
	s_and_b64 s[16:17], s[16:17], s[14:15]
	s_mul_i32 s5, s17, 24
	s_mul_hi_u32 s17, s16, 24
	s_mul_i32 s16, s16, 24
	s_add_i32 s17, s17, s5
	v_add_co_u32 v12, vcc_lo, v28, s16
	v_add_co_ci_u32_e32 v13, vcc_lo, s17, v29, vcc_lo
	s_mov_b32 s5, exec_lo
	global_store_b64 v[12:13], v[16:17], off
	s_waitcnt_vscnt null, 0x0
	global_atomic_cmpswap_b64 v[7:8], v9, v[14:17], s[6:7] offset:32 glc
	s_waitcnt vmcnt(0)
	v_cmpx_ne_u64_e64 v[7:8], v[16:17]
	s_cbranch_execz .LBB3_513
; %bb.511:                              ;   in Loop: Header=BB3_452 Depth=1
	s_mov_b32 s16, 0
.LBB3_512:                              ;   Parent Loop BB3_452 Depth=1
                                        ; =>  This Inner Loop Header: Depth=2
	v_dual_mov_b32 v5, s14 :: v_dual_mov_b32 v6, s15
	s_sleep 1
	global_store_b64 v[12:13], v[7:8], off
	s_waitcnt_vscnt null, 0x0
	global_atomic_cmpswap_b64 v[5:6], v9, v[5:8], s[6:7] offset:32 glc
	s_waitcnt vmcnt(0)
	v_cmp_eq_u64_e32 vcc_lo, v[5:6], v[7:8]
	v_dual_mov_b32 v8, v6 :: v_dual_mov_b32 v7, v5
	s_or_b32 s16, vcc_lo, s16
	s_delay_alu instid0(SALU_CYCLE_1)
	s_and_not1_b32 exec_lo, exec_lo, s16
	s_cbranch_execnz .LBB3_512
.LBB3_513:                              ;   in Loop: Header=BB3_452 Depth=1
	s_or_b32 exec_lo, exec_lo, s5
	global_load_b64 v[5:6], v9, s[6:7] offset:16
	s_mov_b32 s16, exec_lo
	s_mov_b32 s5, exec_lo
	v_mbcnt_lo_u32_b32 v7, s16, 0
	s_delay_alu instid0(VALU_DEP_1)
	v_cmpx_eq_u32_e32 0, v7
	s_cbranch_execz .LBB3_515
; %bb.514:                              ;   in Loop: Header=BB3_452 Depth=1
	s_bcnt1_i32_b32 s16, s16
	s_delay_alu instid0(SALU_CYCLE_1)
	v_mov_b32_e32 v8, s16
	s_waitcnt vmcnt(0)
	global_atomic_add_u64 v[5:6], v[8:9], off offset:8
.LBB3_515:                              ;   in Loop: Header=BB3_452 Depth=1
	s_or_b32 exec_lo, exec_lo, s5
	s_waitcnt vmcnt(0)
	global_load_b64 v[12:13], v[5:6], off offset:16
	s_waitcnt vmcnt(0)
	v_cmp_eq_u64_e32 vcc_lo, 0, v[12:13]
	s_cbranch_vccnz .LBB3_517
; %bb.516:                              ;   in Loop: Header=BB3_452 Depth=1
	global_load_b32 v8, v[5:6], off offset:24
	s_waitcnt vmcnt(0)
	v_and_b32_e32 v5, 0xffffff, v8
	s_waitcnt_vscnt null, 0x0
	global_store_b64 v[12:13], v[8:9], off
	v_readfirstlane_b32 m0, v5
	s_sendmsg sendmsg(MSG_INTERRUPT)
.LBB3_517:                              ;   in Loop: Header=BB3_452 Depth=1
	s_or_b32 exec_lo, exec_lo, s4
	v_add_co_u32 v5, vcc_lo, v30, v33
	v_add_co_ci_u32_e32 v6, vcc_lo, 0, v31, vcc_lo
	s_branch .LBB3_521
	.p2align	6
.LBB3_518:                              ;   in Loop: Header=BB3_521 Depth=2
	s_or_b32 exec_lo, exec_lo, s4
	s_delay_alu instid0(VALU_DEP_1) | instskip(NEXT) | instid1(VALU_DEP_1)
	v_readfirstlane_b32 s4, v7
	s_cmp_eq_u32 s4, 0
	s_cbranch_scc1 .LBB3_520
; %bb.519:                              ;   in Loop: Header=BB3_521 Depth=2
	s_sleep 1
	s_cbranch_execnz .LBB3_521
	s_branch .LBB3_523
	.p2align	6
.LBB3_520:                              ;   in Loop: Header=BB3_452 Depth=1
	s_branch .LBB3_523
.LBB3_521:                              ;   Parent Loop BB3_452 Depth=1
                                        ; =>  This Inner Loop Header: Depth=2
	v_mov_b32_e32 v7, 1
	s_and_saveexec_b32 s4, s3
	s_cbranch_execz .LBB3_518
; %bb.522:                              ;   in Loop: Header=BB3_521 Depth=2
	global_load_b32 v7, v[0:1], off offset:20 glc
	s_waitcnt vmcnt(0)
	buffer_gl1_inv
	buffer_gl0_inv
	v_and_b32_e32 v7, 1, v7
	s_branch .LBB3_518
.LBB3_523:                              ;   in Loop: Header=BB3_452 Depth=1
	global_load_b128 v[5:8], v[5:6], off
	s_and_saveexec_b32 s4, s3
	s_cbranch_execz .LBB3_451
; %bb.524:                              ;   in Loop: Header=BB3_452 Depth=1
	s_clause 0x2
	global_load_b64 v[0:1], v9, s[6:7] offset:40
	global_load_b64 v[7:8], v9, s[6:7] offset:24 glc
	global_load_b64 v[14:15], v9, s[6:7]
	s_waitcnt vmcnt(2)
	v_add_co_u32 v16, vcc_lo, v0, 1
	v_add_co_ci_u32_e32 v17, vcc_lo, 0, v1, vcc_lo
	s_delay_alu instid0(VALU_DEP_2) | instskip(NEXT) | instid1(VALU_DEP_2)
	v_add_co_u32 v12, vcc_lo, v16, s14
	v_add_co_ci_u32_e32 v13, vcc_lo, s15, v17, vcc_lo
	s_delay_alu instid0(VALU_DEP_1) | instskip(SKIP_1) | instid1(VALU_DEP_1)
	v_cmp_eq_u64_e32 vcc_lo, 0, v[12:13]
	v_dual_cndmask_b32 v13, v13, v17 :: v_dual_cndmask_b32 v12, v12, v16
	v_and_b32_e32 v1, v13, v1
	s_delay_alu instid0(VALU_DEP_2) | instskip(NEXT) | instid1(VALU_DEP_1)
	v_and_b32_e32 v0, v12, v0
	v_mul_hi_u32 v16, v0, 24
	v_mul_lo_u32 v0, v0, 24
	s_waitcnt vmcnt(0)
	s_delay_alu instid0(VALU_DEP_1) | instskip(SKIP_2) | instid1(VALU_DEP_1)
	v_add_co_u32 v0, vcc_lo, v14, v0
	v_mov_b32_e32 v14, v7
	v_mul_lo_u32 v1, v1, 24
	v_add_nc_u32_e32 v1, v16, v1
	s_delay_alu instid0(VALU_DEP_1)
	v_add_co_ci_u32_e32 v1, vcc_lo, v15, v1, vcc_lo
	v_mov_b32_e32 v15, v8
	global_store_b64 v[0:1], v[7:8], off
	s_waitcnt_vscnt null, 0x0
	global_atomic_cmpswap_b64 v[14:15], v9, v[12:15], s[6:7] offset:24 glc
	s_waitcnt vmcnt(0)
	v_cmp_ne_u64_e32 vcc_lo, v[14:15], v[7:8]
	s_and_b32 exec_lo, exec_lo, vcc_lo
	s_cbranch_execz .LBB3_451
; %bb.525:                              ;   in Loop: Header=BB3_452 Depth=1
	s_mov_b32 s3, 0
.LBB3_526:                              ;   Parent Loop BB3_452 Depth=1
                                        ; =>  This Inner Loop Header: Depth=2
	s_sleep 1
	global_store_b64 v[0:1], v[14:15], off
	s_waitcnt_vscnt null, 0x0
	global_atomic_cmpswap_b64 v[7:8], v9, v[12:15], s[6:7] offset:24 glc
	s_waitcnt vmcnt(0)
	v_cmp_eq_u64_e32 vcc_lo, v[7:8], v[14:15]
	v_dual_mov_b32 v15, v8 :: v_dual_mov_b32 v14, v7
	s_or_b32 s3, vcc_lo, s3
	s_delay_alu instid0(SALU_CYCLE_1)
	s_and_not1_b32 exec_lo, exec_lo, s3
	s_cbranch_execnz .LBB3_526
	s_branch .LBB3_451
.LBB3_527:
	s_branch .LBB3_583
.LBB3_528:
	v_cmp_gt_i32_e64 s3, 1, v2
	v_cmp_gt_u32_e64 s4, s20, v3
	v_add_nc_u32_e32 v2, -1, v2
	s_delay_alu instid0(VALU_DEP_2) | instskip(NEXT) | instid1(SALU_CYCLE_1)
	s_and_b32 s3, s3, s4
	v_cndmask_b32_e64 v4, 0, 8, s3
	v_add_co_ci_u32_e64 v3, s3, 0, v3, s3
	s_delay_alu instid0(VALU_DEP_2)
	v_or_b32_e32 v1, v4, v1
	s_bitcmp0_b32 s24, 4
	s_cbranch_scc1 .LBB3_384
.LBB3_529:
	v_cmp_gt_i32_e64 s3, 1, v2
	v_cmp_gt_u32_e64 s4, s20, v3
	v_add_nc_u32_e32 v2, -1, v2
	s_delay_alu instid0(VALU_DEP_2) | instskip(NEXT) | instid1(SALU_CYCLE_1)
	s_and_b32 s3, s3, s4
	v_cndmask_b32_e64 v4, 0, 16, s3
	v_add_co_ci_u32_e64 v3, s3, 0, v3, s3
	s_delay_alu instid0(VALU_DEP_2)
	v_or_b32_e32 v1, v4, v1
	s_bitcmp0_b32 s24, 5
	s_cbranch_scc1 .LBB3_385
.LBB3_530:
	v_cmp_gt_i32_e64 s3, 1, v2
	v_cmp_gt_u32_e64 s4, s20, v3
	v_add_nc_u32_e32 v2, -1, v2
	s_delay_alu instid0(VALU_DEP_2) | instskip(NEXT) | instid1(SALU_CYCLE_1)
	s_and_b32 s3, s3, s4
	v_cndmask_b32_e64 v4, 0, 32, s3
	v_add_co_ci_u32_e64 v3, s3, 0, v3, s3
	s_delay_alu instid0(VALU_DEP_2)
	v_or_b32_e32 v1, v4, v1
	s_bitcmp0_b32 s24, 6
	s_cbranch_scc1 .LBB3_386
.LBB3_531:
	v_cmp_gt_i32_e64 s3, 1, v2
	v_cmp_gt_u32_e64 s4, s20, v3
	v_add_nc_u32_e32 v2, -1, v2
	s_delay_alu instid0(VALU_DEP_2) | instskip(NEXT) | instid1(SALU_CYCLE_1)
	s_and_b32 s3, s3, s4
	v_cndmask_b32_e64 v4, 0, 64, s3
	v_add_co_ci_u32_e64 v3, s3, 0, v3, s3
	s_delay_alu instid0(VALU_DEP_2)
	v_or_b32_e32 v1, v4, v1
	s_bitcmp0_b32 s24, 7
	s_cbranch_scc1 .LBB3_387
.LBB3_532:
	v_cmp_gt_i32_e64 s3, 1, v2
	v_cmp_gt_u32_e64 s4, s20, v3
	v_add_nc_u32_e32 v2, -1, v2
	s_delay_alu instid0(VALU_DEP_2) | instskip(NEXT) | instid1(SALU_CYCLE_1)
	s_and_b32 s3, s3, s4
	v_cndmask_b32_e64 v4, 0, 0x80, s3
	v_add_co_ci_u32_e64 v3, s3, 0, v3, s3
	s_delay_alu instid0(VALU_DEP_2)
	v_or_b32_e32 v1, v4, v1
	s_bitcmp0_b32 s24, 8
	s_cbranch_scc1 .LBB3_388
.LBB3_533:
	v_cmp_gt_i32_e64 s3, 1, v2
	v_cmp_gt_u32_e64 s4, s20, v3
	v_add_nc_u32_e32 v2, -1, v2
	s_delay_alu instid0(VALU_DEP_2) | instskip(NEXT) | instid1(SALU_CYCLE_1)
	s_and_b32 s3, s3, s4
	v_cndmask_b32_e64 v4, 0, 0x100, s3
	v_add_co_ci_u32_e64 v3, s3, 0, v3, s3
	s_delay_alu instid0(VALU_DEP_2)
	v_or_b32_e32 v1, v4, v1
	s_bitcmp0_b32 s24, 9
	s_cbranch_scc1 .LBB3_389
.LBB3_534:
	v_cmp_gt_i32_e64 s3, 1, v2
	v_cmp_gt_u32_e64 s4, s20, v3
	v_add_nc_u32_e32 v2, -1, v2
	s_delay_alu instid0(VALU_DEP_2) | instskip(NEXT) | instid1(SALU_CYCLE_1)
	s_and_b32 s3, s3, s4
	v_cndmask_b32_e64 v4, 0, 0x200, s3
	v_add_co_ci_u32_e64 v3, s3, 0, v3, s3
	s_delay_alu instid0(VALU_DEP_2)
	v_or_b32_e32 v1, v4, v1
	s_bitcmp0_b32 s24, 10
	s_cbranch_scc1 .LBB3_390
.LBB3_535:
	v_cmp_gt_i32_e64 s3, 1, v2
	v_cmp_gt_u32_e64 s4, s20, v3
	v_add_nc_u32_e32 v2, -1, v2
	s_delay_alu instid0(VALU_DEP_2) | instskip(NEXT) | instid1(SALU_CYCLE_1)
	s_and_b32 s3, s3, s4
	v_cndmask_b32_e64 v4, 0, 0x400, s3
	v_add_co_ci_u32_e64 v3, s3, 0, v3, s3
	s_delay_alu instid0(VALU_DEP_2)
	v_or_b32_e32 v1, v4, v1
	s_bitcmp0_b32 s24, 11
	s_cbranch_scc1 .LBB3_391
.LBB3_536:
	v_cmp_gt_i32_e64 s3, 1, v2
	v_cmp_gt_u32_e64 s4, s20, v3
	v_add_nc_u32_e32 v2, -1, v2
	s_delay_alu instid0(VALU_DEP_2) | instskip(NEXT) | instid1(SALU_CYCLE_1)
	s_and_b32 s3, s3, s4
	v_cndmask_b32_e64 v4, 0, 0x800, s3
	v_add_co_ci_u32_e64 v3, s3, 0, v3, s3
	s_delay_alu instid0(VALU_DEP_2)
	v_or_b32_e32 v1, v4, v1
	s_bitcmp0_b32 s24, 12
	s_cbranch_scc1 .LBB3_392
.LBB3_537:
	v_cmp_gt_i32_e64 s3, 1, v2
	v_cmp_gt_u32_e64 s4, s20, v3
	v_add_nc_u32_e32 v2, -1, v2
	s_delay_alu instid0(VALU_DEP_2) | instskip(NEXT) | instid1(SALU_CYCLE_1)
	s_and_b32 s3, s3, s4
	v_cndmask_b32_e64 v4, 0, 0x1000, s3
	v_add_co_ci_u32_e64 v3, s3, 0, v3, s3
	s_delay_alu instid0(VALU_DEP_2)
	v_or_b32_e32 v1, v4, v1
	s_bitcmp0_b32 s24, 13
	s_cbranch_scc1 .LBB3_393
.LBB3_538:
	v_cmp_gt_i32_e64 s3, 1, v2
	v_cmp_gt_u32_e64 s4, s20, v3
	v_add_nc_u32_e32 v2, -1, v2
	s_delay_alu instid0(VALU_DEP_2) | instskip(NEXT) | instid1(SALU_CYCLE_1)
	s_and_b32 s3, s3, s4
	v_cndmask_b32_e64 v4, 0, 0x2000, s3
	v_add_co_ci_u32_e64 v3, s3, 0, v3, s3
	s_delay_alu instid0(VALU_DEP_2)
	v_or_b32_e32 v1, v4, v1
	s_bitcmp0_b32 s24, 14
	s_cbranch_scc1 .LBB3_394
.LBB3_539:
	v_cmp_gt_i32_e64 s3, 1, v2
	v_cmp_gt_u32_e64 s4, s20, v3
	v_add_nc_u32_e32 v2, -1, v2
	s_delay_alu instid0(VALU_DEP_2) | instskip(NEXT) | instid1(SALU_CYCLE_1)
	s_and_b32 s3, s3, s4
	v_cndmask_b32_e64 v4, 0, 0x4000, s3
	v_add_co_ci_u32_e64 v3, s3, 0, v3, s3
	s_delay_alu instid0(VALU_DEP_2)
	v_or_b32_e32 v1, v4, v1
	s_bitcmp0_b32 s24, 15
	s_cbranch_scc1 .LBB3_395
.LBB3_540:
	v_cmp_gt_i32_e64 s3, 1, v2
	v_cmp_gt_u32_e64 s4, s20, v3
	v_add_nc_u32_e32 v2, -1, v2
	s_delay_alu instid0(VALU_DEP_2) | instskip(NEXT) | instid1(SALU_CYCLE_1)
	s_and_b32 s3, s3, s4
	v_cndmask_b32_e64 v4, 0, 0x8000, s3
	v_add_co_ci_u32_e64 v3, s3, 0, v3, s3
	s_delay_alu instid0(VALU_DEP_2)
	v_or_b32_e32 v1, v4, v1
	s_bitcmp0_b32 s24, 16
	s_cbranch_scc1 .LBB3_396
.LBB3_541:
	v_cmp_gt_i32_e64 s3, 1, v2
	v_cmp_gt_u32_e64 s4, s20, v3
	v_add_nc_u32_e32 v2, -1, v2
	s_delay_alu instid0(VALU_DEP_2) | instskip(NEXT) | instid1(SALU_CYCLE_1)
	s_and_b32 s3, s3, s4
	v_cndmask_b32_e64 v4, 0, 0x10000, s3
	v_add_co_ci_u32_e64 v3, s3, 0, v3, s3
	s_delay_alu instid0(VALU_DEP_2)
	v_or_b32_e32 v1, v4, v1
	s_bitcmp0_b32 s24, 17
	s_cbranch_scc1 .LBB3_397
.LBB3_542:
	v_cmp_gt_i32_e64 s3, 1, v2
	v_cmp_gt_u32_e64 s4, s20, v3
	v_add_nc_u32_e32 v2, -1, v2
	s_delay_alu instid0(VALU_DEP_2) | instskip(NEXT) | instid1(SALU_CYCLE_1)
	s_and_b32 s3, s3, s4
	v_cndmask_b32_e64 v4, 0, 0x20000, s3
	v_add_co_ci_u32_e64 v3, s3, 0, v3, s3
	s_delay_alu instid0(VALU_DEP_2)
	v_or_b32_e32 v1, v4, v1
	s_bitcmp0_b32 s24, 18
	s_cbranch_scc1 .LBB3_398
.LBB3_543:
	v_cmp_gt_i32_e64 s3, 1, v2
	v_cmp_gt_u32_e64 s4, s20, v3
	v_add_nc_u32_e32 v2, -1, v2
	s_delay_alu instid0(VALU_DEP_2) | instskip(NEXT) | instid1(SALU_CYCLE_1)
	s_and_b32 s3, s3, s4
	v_cndmask_b32_e64 v4, 0, 0x40000, s3
	v_add_co_ci_u32_e64 v3, s3, 0, v3, s3
	s_delay_alu instid0(VALU_DEP_2)
	v_or_b32_e32 v1, v4, v1
	s_bitcmp0_b32 s24, 19
	s_cbranch_scc1 .LBB3_399
.LBB3_544:
	v_cmp_gt_i32_e64 s3, 1, v2
	v_cmp_gt_u32_e64 s4, s20, v3
	v_add_nc_u32_e32 v2, -1, v2
	s_delay_alu instid0(VALU_DEP_2) | instskip(NEXT) | instid1(SALU_CYCLE_1)
	s_and_b32 s3, s3, s4
	v_cndmask_b32_e64 v4, 0, 0x80000, s3
	v_add_co_ci_u32_e64 v3, s3, 0, v3, s3
	s_delay_alu instid0(VALU_DEP_2)
	v_or_b32_e32 v1, v4, v1
	s_bitcmp0_b32 s24, 20
	s_cbranch_scc1 .LBB3_400
.LBB3_545:
	v_cmp_gt_i32_e64 s3, 1, v2
	v_cmp_gt_u32_e64 s4, s20, v3
	v_add_nc_u32_e32 v2, -1, v2
	s_delay_alu instid0(VALU_DEP_2) | instskip(NEXT) | instid1(SALU_CYCLE_1)
	s_and_b32 s3, s3, s4
	v_cndmask_b32_e64 v4, 0, 0x100000, s3
	v_add_co_ci_u32_e64 v3, s3, 0, v3, s3
	s_delay_alu instid0(VALU_DEP_2)
	v_or_b32_e32 v1, v4, v1
	s_bitcmp0_b32 s24, 21
	s_cbranch_scc1 .LBB3_401
.LBB3_546:
	v_cmp_gt_i32_e64 s3, 1, v2
	v_cmp_gt_u32_e64 s4, s20, v3
	v_add_nc_u32_e32 v2, -1, v2
	s_delay_alu instid0(VALU_DEP_2) | instskip(NEXT) | instid1(SALU_CYCLE_1)
	s_and_b32 s3, s3, s4
	v_cndmask_b32_e64 v4, 0, 0x200000, s3
	v_add_co_ci_u32_e64 v3, s3, 0, v3, s3
	s_delay_alu instid0(VALU_DEP_2)
	v_or_b32_e32 v1, v4, v1
	s_bitcmp0_b32 s24, 22
	s_cbranch_scc1 .LBB3_402
.LBB3_547:
	v_cmp_gt_i32_e64 s3, 1, v2
	v_cmp_gt_u32_e64 s4, s20, v3
	v_add_nc_u32_e32 v2, -1, v2
	s_delay_alu instid0(VALU_DEP_2) | instskip(NEXT) | instid1(SALU_CYCLE_1)
	s_and_b32 s3, s3, s4
	v_cndmask_b32_e64 v4, 0, 0x400000, s3
	v_add_co_ci_u32_e64 v3, s3, 0, v3, s3
	s_delay_alu instid0(VALU_DEP_2)
	v_or_b32_e32 v1, v4, v1
	s_bitcmp0_b32 s24, 23
	s_cbranch_scc1 .LBB3_403
.LBB3_548:
	v_cmp_gt_i32_e64 s3, 1, v2
	v_cmp_gt_u32_e64 s4, s20, v3
	v_add_nc_u32_e32 v2, -1, v2
	s_delay_alu instid0(VALU_DEP_2) | instskip(NEXT) | instid1(SALU_CYCLE_1)
	s_and_b32 s3, s3, s4
	v_cndmask_b32_e64 v4, 0, 0x800000, s3
	v_add_co_ci_u32_e64 v3, s3, 0, v3, s3
	s_delay_alu instid0(VALU_DEP_2)
	v_or_b32_e32 v1, v4, v1
	s_bitcmp0_b32 s24, 24
	s_cbranch_scc1 .LBB3_404
.LBB3_549:
	v_cmp_gt_i32_e64 s3, 1, v2
	v_cmp_gt_u32_e64 s4, s20, v3
	v_add_nc_u32_e32 v2, -1, v2
	s_delay_alu instid0(VALU_DEP_2) | instskip(NEXT) | instid1(SALU_CYCLE_1)
	s_and_b32 s3, s3, s4
	v_cndmask_b32_e64 v4, 0, 0x1000000, s3
	v_add_co_ci_u32_e64 v3, s3, 0, v3, s3
	s_delay_alu instid0(VALU_DEP_2)
	v_or_b32_e32 v1, v4, v1
	s_bitcmp0_b32 s24, 25
	s_cbranch_scc1 .LBB3_405
.LBB3_550:
	v_cmp_gt_i32_e64 s3, 1, v2
	v_cmp_gt_u32_e64 s4, s20, v3
	v_add_nc_u32_e32 v2, -1, v2
	s_delay_alu instid0(VALU_DEP_2) | instskip(NEXT) | instid1(SALU_CYCLE_1)
	s_and_b32 s3, s3, s4
	v_cndmask_b32_e64 v4, 0, 0x2000000, s3
	v_add_co_ci_u32_e64 v3, s3, 0, v3, s3
	s_delay_alu instid0(VALU_DEP_2)
	v_or_b32_e32 v1, v4, v1
	s_bitcmp0_b32 s24, 26
	s_cbranch_scc1 .LBB3_406
.LBB3_551:
	v_cmp_gt_i32_e64 s3, 1, v2
	v_cmp_gt_u32_e64 s4, s20, v3
	v_add_nc_u32_e32 v2, -1, v2
	s_delay_alu instid0(VALU_DEP_2) | instskip(NEXT) | instid1(SALU_CYCLE_1)
	s_and_b32 s3, s3, s4
	v_cndmask_b32_e64 v4, 0, 0x4000000, s3
	v_add_co_ci_u32_e64 v3, s3, 0, v3, s3
	s_delay_alu instid0(VALU_DEP_2)
	v_or_b32_e32 v1, v4, v1
	s_bitcmp0_b32 s24, 27
	s_cbranch_scc1 .LBB3_407
.LBB3_552:
	v_cmp_gt_i32_e64 s3, 1, v2
	v_cmp_gt_u32_e64 s4, s20, v3
	v_add_nc_u32_e32 v2, -1, v2
	s_delay_alu instid0(VALU_DEP_2) | instskip(NEXT) | instid1(SALU_CYCLE_1)
	s_and_b32 s3, s3, s4
	v_cndmask_b32_e64 v4, 0, 0x8000000, s3
	v_add_co_ci_u32_e64 v3, s3, 0, v3, s3
	s_delay_alu instid0(VALU_DEP_2)
	v_or_b32_e32 v1, v4, v1
	s_bitcmp0_b32 s24, 28
	s_cbranch_scc1 .LBB3_408
.LBB3_553:
	v_cmp_gt_i32_e64 s3, 1, v2
	v_cmp_gt_u32_e64 s4, s20, v3
	v_add_nc_u32_e32 v2, -1, v2
	s_delay_alu instid0(VALU_DEP_2) | instskip(NEXT) | instid1(SALU_CYCLE_1)
	s_and_b32 s3, s3, s4
	v_cndmask_b32_e64 v4, 0, 0x10000000, s3
	v_add_co_ci_u32_e64 v3, s3, 0, v3, s3
	s_delay_alu instid0(VALU_DEP_2)
	v_or_b32_e32 v1, v4, v1
	s_bitcmp0_b32 s24, 29
	s_cbranch_scc1 .LBB3_409
.LBB3_554:
	v_cmp_gt_i32_e64 s3, 1, v2
	v_cmp_gt_u32_e64 s4, s20, v3
	v_add_nc_u32_e32 v2, -1, v2
	s_delay_alu instid0(VALU_DEP_2) | instskip(NEXT) | instid1(SALU_CYCLE_1)
	s_and_b32 s3, s3, s4
	v_cndmask_b32_e64 v4, 0, 0x20000000, s3
	v_add_co_ci_u32_e64 v3, s3, 0, v3, s3
	s_delay_alu instid0(VALU_DEP_2)
	v_or_b32_e32 v1, v4, v1
	s_bitcmp0_b32 s24, 30
	s_cbranch_scc0 .LBB3_410
	s_branch .LBB3_411
.LBB3_555:
                                        ; implicit-def: $vgpr5_vgpr6
	s_cbranch_execz .LBB3_583
; %bb.556:
	v_readfirstlane_b32 s3, v34
	v_mov_b32_e32 v0, 0
	v_mov_b32_e32 v1, 0
	s_delay_alu instid0(VALU_DEP_3) | instskip(NEXT) | instid1(VALU_DEP_1)
	v_cmp_eq_u32_e64 s3, s3, v34
	s_and_saveexec_b32 s4, s3
	s_cbranch_execz .LBB3_562
; %bb.557:
	s_waitcnt vmcnt(0)
	v_mov_b32_e32 v5, 0
	s_mov_b32 s5, exec_lo
	global_load_b64 v[8:9], v5, s[6:7] offset:24 glc
	s_waitcnt vmcnt(0)
	buffer_gl1_inv
	buffer_gl0_inv
	s_clause 0x1
	global_load_b64 v[0:1], v5, s[6:7] offset:40
	global_load_b64 v[6:7], v5, s[6:7]
	s_waitcnt vmcnt(1)
	v_and_b32_e32 v0, v0, v8
	v_and_b32_e32 v1, v1, v9
	s_delay_alu instid0(VALU_DEP_2) | instskip(NEXT) | instid1(VALU_DEP_2)
	v_mul_hi_u32 v10, v0, 24
	v_mul_lo_u32 v1, v1, 24
	v_mul_lo_u32 v0, v0, 24
	s_delay_alu instid0(VALU_DEP_2) | instskip(SKIP_1) | instid1(VALU_DEP_2)
	v_add_nc_u32_e32 v1, v10, v1
	s_waitcnt vmcnt(0)
	v_add_co_u32 v0, vcc_lo, v6, v0
	s_delay_alu instid0(VALU_DEP_2)
	v_add_co_ci_u32_e32 v1, vcc_lo, v7, v1, vcc_lo
	global_load_b64 v[6:7], v[0:1], off glc
	s_waitcnt vmcnt(0)
	global_atomic_cmpswap_b64 v[0:1], v5, v[6:9], s[6:7] offset:24 glc
	s_waitcnt vmcnt(0)
	buffer_gl1_inv
	buffer_gl0_inv
	v_cmpx_ne_u64_e64 v[0:1], v[8:9]
	s_cbranch_execz .LBB3_561
; %bb.558:
	s_mov_b32 s8, 0
	.p2align	6
.LBB3_559:                              ; =>This Inner Loop Header: Depth=1
	s_sleep 1
	s_clause 0x1
	global_load_b64 v[6:7], v5, s[6:7] offset:40
	global_load_b64 v[10:11], v5, s[6:7]
	v_dual_mov_b32 v9, v1 :: v_dual_mov_b32 v8, v0
	s_waitcnt vmcnt(1)
	s_delay_alu instid0(VALU_DEP_1) | instskip(SKIP_1) | instid1(VALU_DEP_1)
	v_and_b32_e32 v6, v6, v8
	s_waitcnt vmcnt(0)
	v_mad_u64_u32 v[0:1], null, v6, 24, v[10:11]
	v_and_b32_e32 v10, v7, v9
	s_delay_alu instid0(VALU_DEP_1) | instskip(NEXT) | instid1(VALU_DEP_1)
	v_mad_u64_u32 v[6:7], null, v10, 24, v[1:2]
	v_mov_b32_e32 v1, v6
	global_load_b64 v[6:7], v[0:1], off glc
	s_waitcnt vmcnt(0)
	global_atomic_cmpswap_b64 v[0:1], v5, v[6:9], s[6:7] offset:24 glc
	s_waitcnt vmcnt(0)
	buffer_gl1_inv
	buffer_gl0_inv
	v_cmp_eq_u64_e32 vcc_lo, v[0:1], v[8:9]
	s_or_b32 s8, vcc_lo, s8
	s_delay_alu instid0(SALU_CYCLE_1)
	s_and_not1_b32 exec_lo, exec_lo, s8
	s_cbranch_execnz .LBB3_559
; %bb.560:
	s_or_b32 exec_lo, exec_lo, s8
.LBB3_561:
	s_delay_alu instid0(SALU_CYCLE_1)
	s_or_b32 exec_lo, exec_lo, s5
.LBB3_562:
	s_delay_alu instid0(SALU_CYCLE_1)
	s_or_b32 exec_lo, exec_lo, s4
	s_waitcnt vmcnt(0)
	v_mov_b32_e32 v5, 0
	v_readfirstlane_b32 s4, v0
	v_readfirstlane_b32 s5, v1
	s_mov_b32 s10, exec_lo
	s_clause 0x1
	global_load_b64 v[11:12], v5, s[6:7] offset:40
	global_load_b128 v[7:10], v5, s[6:7]
	s_waitcnt vmcnt(1)
	v_readfirstlane_b32 s8, v11
	v_readfirstlane_b32 s9, v12
	s_delay_alu instid0(VALU_DEP_1) | instskip(NEXT) | instid1(SALU_CYCLE_1)
	s_and_b64 s[8:9], s[4:5], s[8:9]
	s_mul_i32 s11, s9, 24
	s_mul_hi_u32 s12, s8, 24
	s_mul_i32 s13, s8, 24
	s_add_i32 s12, s12, s11
	s_waitcnt vmcnt(0)
	v_add_co_u32 v0, vcc_lo, v7, s13
	v_add_co_ci_u32_e32 v1, vcc_lo, s12, v8, vcc_lo
	s_and_saveexec_b32 s11, s3
	s_cbranch_execz .LBB3_564
; %bb.563:
	v_dual_mov_b32 v11, s10 :: v_dual_mov_b32 v12, v5
	v_dual_mov_b32 v13, 2 :: v_dual_mov_b32 v14, 1
	global_store_b128 v[0:1], v[11:14], off offset:8
.LBB3_564:
	s_or_b32 exec_lo, exec_lo, s11
	s_lshl_b64 s[8:9], s[8:9], 12
	v_and_or_b32 v3, 0xffffff1f, v3, 32
	v_add_co_u32 v9, vcc_lo, v9, s8
	v_add_co_ci_u32_e32 v10, vcc_lo, s9, v10, vcc_lo
	s_mov_b32 s8, 0
	s_delay_alu instid0(VALU_DEP_2)
	v_readfirstlane_b32 s12, v9
	s_mov_b32 s11, s8
	v_add_co_u32 v9, vcc_lo, v9, v33
	s_mov_b32 s9, s8
	s_mov_b32 s10, s8
	v_mov_b32_e32 v6, v5
	v_readfirstlane_b32 s13, v10
	v_dual_mov_b32 v14, s11 :: v_dual_mov_b32 v11, s8
	v_add_co_ci_u32_e32 v10, vcc_lo, 0, v10, vcc_lo
	v_dual_mov_b32 v13, s10 :: v_dual_mov_b32 v12, s9
	s_clause 0x3
	global_store_b128 v33, v[3:6], s[12:13]
	global_store_b128 v33, v[11:14], s[12:13] offset:16
	global_store_b128 v33, v[11:14], s[12:13] offset:32
	;; [unrolled: 1-line block ×3, first 2 shown]
	s_and_saveexec_b32 s8, s3
	s_cbranch_execz .LBB3_572
; %bb.565:
	v_dual_mov_b32 v11, 0 :: v_dual_mov_b32 v12, s4
	v_mov_b32_e32 v13, s5
	s_clause 0x1
	global_load_b64 v[14:15], v11, s[6:7] offset:32 glc
	global_load_b64 v[3:4], v11, s[6:7] offset:40
	s_waitcnt vmcnt(0)
	v_readfirstlane_b32 s10, v3
	v_readfirstlane_b32 s11, v4
	s_delay_alu instid0(VALU_DEP_1) | instskip(NEXT) | instid1(SALU_CYCLE_1)
	s_and_b64 s[10:11], s[10:11], s[4:5]
	s_mul_i32 s9, s11, 24
	s_mul_hi_u32 s11, s10, 24
	s_mul_i32 s10, s10, 24
	s_add_i32 s11, s11, s9
	v_add_co_u32 v7, vcc_lo, v7, s10
	v_add_co_ci_u32_e32 v8, vcc_lo, s11, v8, vcc_lo
	s_mov_b32 s9, exec_lo
	global_store_b64 v[7:8], v[14:15], off
	s_waitcnt_vscnt null, 0x0
	global_atomic_cmpswap_b64 v[5:6], v11, v[12:15], s[6:7] offset:32 glc
	s_waitcnt vmcnt(0)
	v_cmpx_ne_u64_e64 v[5:6], v[14:15]
	s_cbranch_execz .LBB3_568
; %bb.566:
	s_mov_b32 s10, 0
.LBB3_567:                              ; =>This Inner Loop Header: Depth=1
	v_dual_mov_b32 v3, s4 :: v_dual_mov_b32 v4, s5
	s_sleep 1
	global_store_b64 v[7:8], v[5:6], off
	s_waitcnt_vscnt null, 0x0
	global_atomic_cmpswap_b64 v[3:4], v11, v[3:6], s[6:7] offset:32 glc
	s_waitcnt vmcnt(0)
	v_cmp_eq_u64_e32 vcc_lo, v[3:4], v[5:6]
	v_dual_mov_b32 v6, v4 :: v_dual_mov_b32 v5, v3
	s_or_b32 s10, vcc_lo, s10
	s_delay_alu instid0(SALU_CYCLE_1)
	s_and_not1_b32 exec_lo, exec_lo, s10
	s_cbranch_execnz .LBB3_567
.LBB3_568:
	s_or_b32 exec_lo, exec_lo, s9
	v_mov_b32_e32 v6, 0
	s_mov_b32 s10, exec_lo
	s_mov_b32 s9, exec_lo
	v_mbcnt_lo_u32_b32 v5, s10, 0
	global_load_b64 v[3:4], v6, s[6:7] offset:16
	v_cmpx_eq_u32_e32 0, v5
	s_cbranch_execz .LBB3_570
; %bb.569:
	s_bcnt1_i32_b32 s10, s10
	s_delay_alu instid0(SALU_CYCLE_1)
	v_mov_b32_e32 v5, s10
	s_waitcnt vmcnt(0)
	global_atomic_add_u64 v[3:4], v[5:6], off offset:8
.LBB3_570:
	s_or_b32 exec_lo, exec_lo, s9
	s_waitcnt vmcnt(0)
	global_load_b64 v[5:6], v[3:4], off offset:16
	s_waitcnt vmcnt(0)
	v_cmp_eq_u64_e32 vcc_lo, 0, v[5:6]
	s_cbranch_vccnz .LBB3_572
; %bb.571:
	global_load_b32 v3, v[3:4], off offset:24
	s_waitcnt vmcnt(0)
	v_dual_mov_b32 v4, 0 :: v_dual_and_b32 v7, 0xffffff, v3
	s_waitcnt_vscnt null, 0x0
	global_store_b64 v[5:6], v[3:4], off
	v_readfirstlane_b32 m0, v7
	s_sendmsg sendmsg(MSG_INTERRUPT)
.LBB3_572:
	s_or_b32 exec_lo, exec_lo, s8
	s_branch .LBB3_576
	.p2align	6
.LBB3_573:                              ;   in Loop: Header=BB3_576 Depth=1
	s_or_b32 exec_lo, exec_lo, s8
	s_delay_alu instid0(VALU_DEP_1) | instskip(NEXT) | instid1(VALU_DEP_1)
	v_readfirstlane_b32 s8, v3
	s_cmp_eq_u32 s8, 0
	s_cbranch_scc1 .LBB3_575
; %bb.574:                              ;   in Loop: Header=BB3_576 Depth=1
	s_sleep 1
	s_cbranch_execnz .LBB3_576
	s_branch .LBB3_578
	.p2align	6
.LBB3_575:
	s_branch .LBB3_578
.LBB3_576:                              ; =>This Inner Loop Header: Depth=1
	v_mov_b32_e32 v3, 1
	s_and_saveexec_b32 s8, s3
	s_cbranch_execz .LBB3_573
; %bb.577:                              ;   in Loop: Header=BB3_576 Depth=1
	global_load_b32 v3, v[0:1], off offset:20 glc
	s_waitcnt vmcnt(0)
	buffer_gl1_inv
	buffer_gl0_inv
	v_and_b32_e32 v3, 1, v3
	s_branch .LBB3_573
.LBB3_578:
	global_load_b64 v[5:6], v[9:10], off
	s_and_saveexec_b32 s8, s3
	s_cbranch_execz .LBB3_582
; %bb.579:
	v_mov_b32_e32 v3, 0
	s_clause 0x2
	global_load_b64 v[0:1], v3, s[6:7] offset:40
	global_load_b64 v[11:12], v3, s[6:7] offset:24 glc
	global_load_b64 v[9:10], v3, s[6:7]
	s_waitcnt vmcnt(2)
	v_add_co_u32 v4, vcc_lo, v0, 1
	v_add_co_ci_u32_e32 v13, vcc_lo, 0, v1, vcc_lo
	s_delay_alu instid0(VALU_DEP_2) | instskip(NEXT) | instid1(VALU_DEP_2)
	v_add_co_u32 v7, vcc_lo, v4, s4
	v_add_co_ci_u32_e32 v8, vcc_lo, s5, v13, vcc_lo
	s_delay_alu instid0(VALU_DEP_1) | instskip(SKIP_1) | instid1(VALU_DEP_1)
	v_cmp_eq_u64_e32 vcc_lo, 0, v[7:8]
	v_dual_cndmask_b32 v8, v8, v13 :: v_dual_cndmask_b32 v7, v7, v4
	v_and_b32_e32 v1, v8, v1
	s_delay_alu instid0(VALU_DEP_2) | instskip(NEXT) | instid1(VALU_DEP_2)
	v_and_b32_e32 v0, v7, v0
	v_mul_lo_u32 v1, v1, 24
	s_delay_alu instid0(VALU_DEP_2) | instskip(SKIP_1) | instid1(VALU_DEP_2)
	v_mul_hi_u32 v4, v0, 24
	v_mul_lo_u32 v0, v0, 24
	v_add_nc_u32_e32 v1, v4, v1
	s_waitcnt vmcnt(0)
	s_delay_alu instid0(VALU_DEP_2) | instskip(SKIP_1) | instid1(VALU_DEP_3)
	v_add_co_u32 v0, vcc_lo, v9, v0
	v_mov_b32_e32 v9, v11
	v_add_co_ci_u32_e32 v1, vcc_lo, v10, v1, vcc_lo
	v_mov_b32_e32 v10, v12
	global_store_b64 v[0:1], v[11:12], off
	s_waitcnt_vscnt null, 0x0
	global_atomic_cmpswap_b64 v[9:10], v3, v[7:10], s[6:7] offset:24 glc
	s_waitcnt vmcnt(0)
	v_cmp_ne_u64_e32 vcc_lo, v[9:10], v[11:12]
	s_and_b32 exec_lo, exec_lo, vcc_lo
	s_cbranch_execz .LBB3_582
; %bb.580:
	s_mov_b32 s3, 0
.LBB3_581:                              ; =>This Inner Loop Header: Depth=1
	s_sleep 1
	global_store_b64 v[0:1], v[9:10], off
	s_waitcnt_vscnt null, 0x0
	global_atomic_cmpswap_b64 v[11:12], v3, v[7:10], s[6:7] offset:24 glc
	s_waitcnt vmcnt(0)
	v_cmp_eq_u64_e32 vcc_lo, v[11:12], v[9:10]
	v_dual_mov_b32 v9, v11 :: v_dual_mov_b32 v10, v12
	s_or_b32 s3, vcc_lo, s3
	s_delay_alu instid0(SALU_CYCLE_1)
	s_and_not1_b32 exec_lo, exec_lo, s3
	s_cbranch_execnz .LBB3_581
.LBB3_582:
	s_or_b32 exec_lo, exec_lo, s8
.LBB3_583:
	v_readfirstlane_b32 s3, v34
	v_mov_b32_e32 v0, 0
	v_mov_b32_e32 v1, 0
	s_delay_alu instid0(VALU_DEP_3) | instskip(NEXT) | instid1(VALU_DEP_1)
	v_cmp_eq_u32_e64 s3, s3, v34
	s_and_saveexec_b32 s4, s3
	s_cbranch_execz .LBB3_589
; %bb.584:
	s_waitcnt vmcnt(0)
	v_mov_b32_e32 v3, 0
	s_mov_b32 s5, exec_lo
	global_load_b64 v[9:10], v3, s[6:7] offset:24 glc
	s_waitcnt vmcnt(0)
	buffer_gl1_inv
	buffer_gl0_inv
	s_clause 0x1
	global_load_b64 v[0:1], v3, s[6:7] offset:40
	global_load_b64 v[7:8], v3, s[6:7]
	s_waitcnt vmcnt(1)
	v_and_b32_e32 v0, v0, v9
	v_and_b32_e32 v1, v1, v10
	s_delay_alu instid0(VALU_DEP_2) | instskip(NEXT) | instid1(VALU_DEP_2)
	v_mul_hi_u32 v4, v0, 24
	v_mul_lo_u32 v1, v1, 24
	v_mul_lo_u32 v0, v0, 24
	s_delay_alu instid0(VALU_DEP_2) | instskip(SKIP_1) | instid1(VALU_DEP_2)
	v_add_nc_u32_e32 v1, v4, v1
	s_waitcnt vmcnt(0)
	v_add_co_u32 v0, vcc_lo, v7, v0
	s_delay_alu instid0(VALU_DEP_2)
	v_add_co_ci_u32_e32 v1, vcc_lo, v8, v1, vcc_lo
	global_load_b64 v[7:8], v[0:1], off glc
	s_waitcnt vmcnt(0)
	global_atomic_cmpswap_b64 v[0:1], v3, v[7:10], s[6:7] offset:24 glc
	s_waitcnt vmcnt(0)
	buffer_gl1_inv
	buffer_gl0_inv
	v_cmpx_ne_u64_e64 v[0:1], v[9:10]
	s_cbranch_execz .LBB3_588
; %bb.585:
	s_mov_b32 s8, 0
	.p2align	6
.LBB3_586:                              ; =>This Inner Loop Header: Depth=1
	s_sleep 1
	s_clause 0x1
	global_load_b64 v[7:8], v3, s[6:7] offset:40
	global_load_b64 v[11:12], v3, s[6:7]
	v_dual_mov_b32 v10, v1 :: v_dual_mov_b32 v9, v0
	s_waitcnt vmcnt(1)
	s_delay_alu instid0(VALU_DEP_1) | instskip(SKIP_1) | instid1(VALU_DEP_1)
	v_and_b32_e32 v4, v7, v9
	s_waitcnt vmcnt(0)
	v_mad_u64_u32 v[0:1], null, v4, 24, v[11:12]
	v_and_b32_e32 v4, v8, v10
	s_delay_alu instid0(VALU_DEP_1) | instskip(NEXT) | instid1(VALU_DEP_1)
	v_mad_u64_u32 v[7:8], null, v4, 24, v[1:2]
	v_mov_b32_e32 v1, v7
	global_load_b64 v[7:8], v[0:1], off glc
	s_waitcnt vmcnt(0)
	global_atomic_cmpswap_b64 v[0:1], v3, v[7:10], s[6:7] offset:24 glc
	s_waitcnt vmcnt(0)
	buffer_gl1_inv
	buffer_gl0_inv
	v_cmp_eq_u64_e32 vcc_lo, v[0:1], v[9:10]
	s_or_b32 s8, vcc_lo, s8
	s_delay_alu instid0(SALU_CYCLE_1)
	s_and_not1_b32 exec_lo, exec_lo, s8
	s_cbranch_execnz .LBB3_586
; %bb.587:
	s_or_b32 exec_lo, exec_lo, s8
.LBB3_588:
	s_delay_alu instid0(SALU_CYCLE_1)
	s_or_b32 exec_lo, exec_lo, s5
.LBB3_589:
	s_delay_alu instid0(SALU_CYCLE_1)
	s_or_b32 exec_lo, exec_lo, s4
	s_waitcnt vmcnt(0)
	v_mov_b32_e32 v8, 0
	v_readfirstlane_b32 s4, v0
	v_readfirstlane_b32 s5, v1
	s_mov_b32 s10, exec_lo
	s_clause 0x1
	global_load_b64 v[3:4], v8, s[6:7] offset:40
	global_load_b128 v[9:12], v8, s[6:7]
	s_waitcnt vmcnt(1)
	v_readfirstlane_b32 s8, v3
	v_readfirstlane_b32 s9, v4
	s_delay_alu instid0(VALU_DEP_1) | instskip(NEXT) | instid1(SALU_CYCLE_1)
	s_and_b64 s[8:9], s[4:5], s[8:9]
	s_mul_i32 s11, s9, 24
	s_mul_hi_u32 s12, s8, 24
	s_mul_i32 s13, s8, 24
	s_add_i32 s12, s12, s11
	s_waitcnt vmcnt(0)
	v_add_co_u32 v0, vcc_lo, v9, s13
	v_add_co_ci_u32_e32 v1, vcc_lo, s12, v10, vcc_lo
	s_and_saveexec_b32 s11, s3
	s_cbranch_execz .LBB3_591
; %bb.590:
	v_dual_mov_b32 v7, s10 :: v_dual_mov_b32 v16, 1
	v_dual_mov_b32 v15, 2 :: v_dual_mov_b32 v14, v8
	s_delay_alu instid0(VALU_DEP_2)
	v_mov_b32_e32 v13, v7
	global_store_b128 v[0:1], v[13:16], off offset:8
.LBB3_591:
	s_or_b32 exec_lo, exec_lo, s11
	s_lshl_b64 s[8:9], s[8:9], 12
	v_and_or_b32 v5, 0xffffff1f, v5, 32
	v_add_co_u32 v3, vcc_lo, v11, s8
	v_add_co_ci_u32_e32 v4, vcc_lo, s9, v12, vcc_lo
	s_mov_b32 s8, 0
	s_delay_alu instid0(VALU_DEP_2)
	v_add_co_u32 v11, vcc_lo, v3, v33
	s_mov_b32 s11, s8
	s_mov_b32 s9, s8
	;; [unrolled: 1-line block ×3, first 2 shown]
	v_dual_mov_b32 v16, s11 :: v_dual_add_nc_u32 v7, -1, v36
	v_readfirstlane_b32 s12, v3
	v_readfirstlane_b32 s13, v4
	v_add_co_ci_u32_e32 v12, vcc_lo, 0, v4, vcc_lo
	v_dual_mov_b32 v15, s10 :: v_dual_mov_b32 v14, s9
	v_mov_b32_e32 v13, s8
	s_clause 0x3
	global_store_b128 v33, v[5:8], s[12:13]
	global_store_b128 v33, v[13:16], s[12:13] offset:16
	global_store_b128 v33, v[13:16], s[12:13] offset:32
	;; [unrolled: 1-line block ×3, first 2 shown]
	s_and_saveexec_b32 s8, s3
	s_cbranch_execz .LBB3_599
; %bb.592:
	v_dual_mov_b32 v13, 0 :: v_dual_mov_b32 v14, s4
	v_mov_b32_e32 v15, s5
	s_clause 0x1
	global_load_b64 v[16:17], v13, s[6:7] offset:32 glc
	global_load_b64 v[3:4], v13, s[6:7] offset:40
	s_waitcnt vmcnt(0)
	v_readfirstlane_b32 s10, v3
	v_readfirstlane_b32 s11, v4
	s_delay_alu instid0(VALU_DEP_1) | instskip(NEXT) | instid1(SALU_CYCLE_1)
	s_and_b64 s[10:11], s[10:11], s[4:5]
	s_mul_i32 s9, s11, 24
	s_mul_hi_u32 s11, s10, 24
	s_mul_i32 s10, s10, 24
	s_add_i32 s11, s11, s9
	v_add_co_u32 v7, vcc_lo, v9, s10
	v_add_co_ci_u32_e32 v8, vcc_lo, s11, v10, vcc_lo
	s_mov_b32 s9, exec_lo
	global_store_b64 v[7:8], v[16:17], off
	s_waitcnt_vscnt null, 0x0
	global_atomic_cmpswap_b64 v[5:6], v13, v[14:17], s[6:7] offset:32 glc
	s_waitcnt vmcnt(0)
	v_cmpx_ne_u64_e64 v[5:6], v[16:17]
	s_cbranch_execz .LBB3_595
; %bb.593:
	s_mov_b32 s10, 0
.LBB3_594:                              ; =>This Inner Loop Header: Depth=1
	v_dual_mov_b32 v3, s4 :: v_dual_mov_b32 v4, s5
	s_sleep 1
	global_store_b64 v[7:8], v[5:6], off
	s_waitcnt_vscnt null, 0x0
	global_atomic_cmpswap_b64 v[3:4], v13, v[3:6], s[6:7] offset:32 glc
	s_waitcnt vmcnt(0)
	v_cmp_eq_u64_e32 vcc_lo, v[3:4], v[5:6]
	v_dual_mov_b32 v6, v4 :: v_dual_mov_b32 v5, v3
	s_or_b32 s10, vcc_lo, s10
	s_delay_alu instid0(SALU_CYCLE_1)
	s_and_not1_b32 exec_lo, exec_lo, s10
	s_cbranch_execnz .LBB3_594
.LBB3_595:
	s_or_b32 exec_lo, exec_lo, s9
	v_mov_b32_e32 v6, 0
	s_mov_b32 s10, exec_lo
	s_mov_b32 s9, exec_lo
	v_mbcnt_lo_u32_b32 v5, s10, 0
	global_load_b64 v[3:4], v6, s[6:7] offset:16
	v_cmpx_eq_u32_e32 0, v5
	s_cbranch_execz .LBB3_597
; %bb.596:
	s_bcnt1_i32_b32 s10, s10
	s_delay_alu instid0(SALU_CYCLE_1)
	v_mov_b32_e32 v5, s10
	s_waitcnt vmcnt(0)
	global_atomic_add_u64 v[3:4], v[5:6], off offset:8
.LBB3_597:
	s_or_b32 exec_lo, exec_lo, s9
	s_waitcnt vmcnt(0)
	global_load_b64 v[5:6], v[3:4], off offset:16
	s_waitcnt vmcnt(0)
	v_cmp_eq_u64_e32 vcc_lo, 0, v[5:6]
	s_cbranch_vccnz .LBB3_599
; %bb.598:
	global_load_b32 v3, v[3:4], off offset:24
	s_waitcnt vmcnt(0)
	v_dual_mov_b32 v4, 0 :: v_dual_and_b32 v7, 0xffffff, v3
	s_waitcnt_vscnt null, 0x0
	global_store_b64 v[5:6], v[3:4], off
	v_readfirstlane_b32 m0, v7
	s_sendmsg sendmsg(MSG_INTERRUPT)
.LBB3_599:
	s_or_b32 exec_lo, exec_lo, s8
	s_branch .LBB3_603
	.p2align	6
.LBB3_600:                              ;   in Loop: Header=BB3_603 Depth=1
	s_or_b32 exec_lo, exec_lo, s8
	s_delay_alu instid0(VALU_DEP_1) | instskip(NEXT) | instid1(VALU_DEP_1)
	v_readfirstlane_b32 s8, v3
	s_cmp_eq_u32 s8, 0
	s_cbranch_scc1 .LBB3_602
; %bb.601:                              ;   in Loop: Header=BB3_603 Depth=1
	s_sleep 1
	s_cbranch_execnz .LBB3_603
	s_branch .LBB3_605
	.p2align	6
.LBB3_602:
	s_branch .LBB3_605
.LBB3_603:                              ; =>This Inner Loop Header: Depth=1
	v_mov_b32_e32 v3, 1
	s_and_saveexec_b32 s8, s3
	s_cbranch_execz .LBB3_600
; %bb.604:                              ;   in Loop: Header=BB3_603 Depth=1
	global_load_b32 v3, v[0:1], off offset:20 glc
	s_waitcnt vmcnt(0)
	buffer_gl1_inv
	buffer_gl0_inv
	v_and_b32_e32 v3, 1, v3
	s_branch .LBB3_600
.LBB3_605:
	global_load_b64 v[3:4], v[11:12], off
	s_and_saveexec_b32 s8, s3
	s_cbranch_execz .LBB3_609
; %bb.606:
	v_mov_b32_e32 v9, 0
	s_clause 0x2
	global_load_b64 v[0:1], v9, s[6:7] offset:40
	global_load_b64 v[10:11], v9, s[6:7] offset:24 glc
	global_load_b64 v[7:8], v9, s[6:7]
	s_waitcnt vmcnt(2)
	v_add_co_u32 v12, vcc_lo, v0, 1
	v_add_co_ci_u32_e32 v13, vcc_lo, 0, v1, vcc_lo
	s_delay_alu instid0(VALU_DEP_2) | instskip(NEXT) | instid1(VALU_DEP_2)
	v_add_co_u32 v5, vcc_lo, v12, s4
	v_add_co_ci_u32_e32 v6, vcc_lo, s5, v13, vcc_lo
	s_delay_alu instid0(VALU_DEP_1) | instskip(SKIP_1) | instid1(VALU_DEP_1)
	v_cmp_eq_u64_e32 vcc_lo, 0, v[5:6]
	v_dual_cndmask_b32 v6, v6, v13 :: v_dual_cndmask_b32 v5, v5, v12
	v_and_b32_e32 v1, v6, v1
	s_delay_alu instid0(VALU_DEP_2) | instskip(NEXT) | instid1(VALU_DEP_2)
	v_and_b32_e32 v0, v5, v0
	v_mul_lo_u32 v1, v1, 24
	s_delay_alu instid0(VALU_DEP_2) | instskip(SKIP_1) | instid1(VALU_DEP_2)
	v_mul_hi_u32 v12, v0, 24
	v_mul_lo_u32 v0, v0, 24
	v_add_nc_u32_e32 v1, v12, v1
	s_waitcnt vmcnt(0)
	s_delay_alu instid0(VALU_DEP_2) | instskip(SKIP_1) | instid1(VALU_DEP_3)
	v_add_co_u32 v0, vcc_lo, v7, v0
	v_mov_b32_e32 v7, v10
	v_add_co_ci_u32_e32 v1, vcc_lo, v8, v1, vcc_lo
	v_mov_b32_e32 v8, v11
	global_store_b64 v[0:1], v[10:11], off
	s_waitcnt_vscnt null, 0x0
	global_atomic_cmpswap_b64 v[7:8], v9, v[5:8], s[6:7] offset:24 glc
	s_waitcnt vmcnt(0)
	v_cmp_ne_u64_e32 vcc_lo, v[7:8], v[10:11]
	s_and_b32 exec_lo, exec_lo, vcc_lo
	s_cbranch_execz .LBB3_609
; %bb.607:
	s_mov_b32 s3, 0
.LBB3_608:                              ; =>This Inner Loop Header: Depth=1
	s_sleep 1
	global_store_b64 v[0:1], v[7:8], off
	s_waitcnt_vscnt null, 0x0
	global_atomic_cmpswap_b64 v[10:11], v9, v[5:8], s[6:7] offset:24 glc
	s_waitcnt vmcnt(0)
	v_cmp_eq_u64_e32 vcc_lo, v[10:11], v[7:8]
	v_dual_mov_b32 v7, v10 :: v_dual_mov_b32 v8, v11
	s_or_b32 s3, vcc_lo, s3
	s_delay_alu instid0(SALU_CYCLE_1)
	s_and_not1_b32 exec_lo, exec_lo, s3
	s_cbranch_execnz .LBB3_608
.LBB3_609:
	s_or_b32 exec_lo, exec_lo, s8
	v_readfirstlane_b32 s3, v34
	v_mov_b32_e32 v0, 0
	v_mov_b32_e32 v1, 0
	s_delay_alu instid0(VALU_DEP_3) | instskip(NEXT) | instid1(VALU_DEP_1)
	v_cmp_eq_u32_e64 s3, s3, v34
	s_and_saveexec_b32 s4, s3
	s_cbranch_execz .LBB3_615
; %bb.610:
	v_mov_b32_e32 v5, 0
	s_mov_b32 s5, exec_lo
	global_load_b64 v[8:9], v5, s[6:7] offset:24 glc
	s_waitcnt vmcnt(0)
	buffer_gl1_inv
	buffer_gl0_inv
	s_clause 0x1
	global_load_b64 v[0:1], v5, s[6:7] offset:40
	global_load_b64 v[6:7], v5, s[6:7]
	s_waitcnt vmcnt(1)
	v_and_b32_e32 v0, v0, v8
	v_and_b32_e32 v1, v1, v9
	s_delay_alu instid0(VALU_DEP_2) | instskip(NEXT) | instid1(VALU_DEP_2)
	v_mul_hi_u32 v10, v0, 24
	v_mul_lo_u32 v1, v1, 24
	v_mul_lo_u32 v0, v0, 24
	s_delay_alu instid0(VALU_DEP_2) | instskip(SKIP_1) | instid1(VALU_DEP_2)
	v_add_nc_u32_e32 v1, v10, v1
	s_waitcnt vmcnt(0)
	v_add_co_u32 v0, vcc_lo, v6, v0
	s_delay_alu instid0(VALU_DEP_2)
	v_add_co_ci_u32_e32 v1, vcc_lo, v7, v1, vcc_lo
	global_load_b64 v[6:7], v[0:1], off glc
	s_waitcnt vmcnt(0)
	global_atomic_cmpswap_b64 v[0:1], v5, v[6:9], s[6:7] offset:24 glc
	s_waitcnt vmcnt(0)
	buffer_gl1_inv
	buffer_gl0_inv
	v_cmpx_ne_u64_e64 v[0:1], v[8:9]
	s_cbranch_execz .LBB3_614
; %bb.611:
	s_mov_b32 s8, 0
	.p2align	6
.LBB3_612:                              ; =>This Inner Loop Header: Depth=1
	s_sleep 1
	s_clause 0x1
	global_load_b64 v[6:7], v5, s[6:7] offset:40
	global_load_b64 v[10:11], v5, s[6:7]
	v_dual_mov_b32 v9, v1 :: v_dual_mov_b32 v8, v0
	s_waitcnt vmcnt(1)
	s_delay_alu instid0(VALU_DEP_1) | instskip(SKIP_1) | instid1(VALU_DEP_1)
	v_and_b32_e32 v6, v6, v8
	s_waitcnt vmcnt(0)
	v_mad_u64_u32 v[0:1], null, v6, 24, v[10:11]
	v_and_b32_e32 v10, v7, v9
	s_delay_alu instid0(VALU_DEP_1) | instskip(NEXT) | instid1(VALU_DEP_1)
	v_mad_u64_u32 v[6:7], null, v10, 24, v[1:2]
	v_mov_b32_e32 v1, v6
	global_load_b64 v[6:7], v[0:1], off glc
	s_waitcnt vmcnt(0)
	global_atomic_cmpswap_b64 v[0:1], v5, v[6:9], s[6:7] offset:24 glc
	s_waitcnt vmcnt(0)
	buffer_gl1_inv
	buffer_gl0_inv
	v_cmp_eq_u64_e32 vcc_lo, v[0:1], v[8:9]
	s_or_b32 s8, vcc_lo, s8
	s_delay_alu instid0(SALU_CYCLE_1)
	s_and_not1_b32 exec_lo, exec_lo, s8
	s_cbranch_execnz .LBB3_612
; %bb.613:
	s_or_b32 exec_lo, exec_lo, s8
.LBB3_614:
	s_delay_alu instid0(SALU_CYCLE_1)
	s_or_b32 exec_lo, exec_lo, s5
.LBB3_615:
	s_delay_alu instid0(SALU_CYCLE_1)
	s_or_b32 exec_lo, exec_lo, s4
	v_mov_b32_e32 v6, 0
	v_readfirstlane_b32 s4, v0
	v_readfirstlane_b32 s5, v1
	s_mov_b32 s10, exec_lo
	s_clause 0x1
	global_load_b64 v[11:12], v6, s[6:7] offset:40
	global_load_b128 v[7:10], v6, s[6:7]
	s_waitcnt vmcnt(1)
	v_readfirstlane_b32 s8, v11
	v_readfirstlane_b32 s9, v12
	s_delay_alu instid0(VALU_DEP_1) | instskip(NEXT) | instid1(SALU_CYCLE_1)
	s_and_b64 s[8:9], s[4:5], s[8:9]
	s_mul_i32 s11, s9, 24
	s_mul_hi_u32 s12, s8, 24
	s_mul_i32 s13, s8, 24
	s_add_i32 s12, s12, s11
	s_waitcnt vmcnt(0)
	v_add_co_u32 v0, vcc_lo, v7, s13
	v_add_co_ci_u32_e32 v1, vcc_lo, s12, v8, vcc_lo
	s_and_saveexec_b32 s11, s3
	s_cbranch_execz .LBB3_617
; %bb.616:
	v_dual_mov_b32 v5, s10 :: v_dual_mov_b32 v14, 1
	v_dual_mov_b32 v13, 2 :: v_dual_mov_b32 v12, v6
	s_delay_alu instid0(VALU_DEP_2)
	v_mov_b32_e32 v11, v5
	global_store_b128 v[0:1], v[11:14], off offset:8
.LBB3_617:
	s_or_b32 exec_lo, exec_lo, s11
	s_lshl_b64 s[8:9], s[8:9], 12
	v_cndmask_b32_e64 v5, -1, v35, s2
	v_add_co_u32 v9, vcc_lo, v9, s8
	v_add_co_ci_u32_e32 v11, vcc_lo, s9, v10, vcc_lo
	s_mov_b32 s8, 0
	s_delay_alu instid0(VALU_DEP_2)
	v_add_co_u32 v10, vcc_lo, v9, v33
	s_mov_b32 s11, s8
	s_mov_b32 s9, s8
	;; [unrolled: 1-line block ×3, first 2 shown]
	v_and_or_b32 v3, 0xffffff1f, v3, 32
	v_readfirstlane_b32 s12, v9
	v_readfirstlane_b32 s13, v11
	v_dual_mov_b32 v15, s11 :: v_dual_mov_b32 v14, s10
	v_add_co_ci_u32_e32 v11, vcc_lo, 0, v11, vcc_lo
	v_dual_mov_b32 v13, s9 :: v_dual_mov_b32 v12, s8
	s_clause 0x3
	global_store_b128 v33, v[3:6], s[12:13]
	global_store_b128 v33, v[12:15], s[12:13] offset:16
	global_store_b128 v33, v[12:15], s[12:13] offset:32
	;; [unrolled: 1-line block ×3, first 2 shown]
	s_and_saveexec_b32 s2, s3
	s_cbranch_execz .LBB3_625
; %bb.618:
	v_dual_mov_b32 v12, 0 :: v_dual_mov_b32 v13, s4
	v_mov_b32_e32 v14, s5
	s_clause 0x1
	global_load_b64 v[15:16], v12, s[6:7] offset:32 glc
	global_load_b64 v[3:4], v12, s[6:7] offset:40
	s_waitcnt vmcnt(0)
	v_readfirstlane_b32 s8, v3
	v_readfirstlane_b32 s9, v4
	s_delay_alu instid0(VALU_DEP_1) | instskip(NEXT) | instid1(SALU_CYCLE_1)
	s_and_b64 s[8:9], s[8:9], s[4:5]
	s_mul_i32 s9, s9, 24
	s_mul_hi_u32 s10, s8, 24
	s_mul_i32 s8, s8, 24
	s_add_i32 s10, s10, s9
	v_add_co_u32 v3, vcc_lo, v7, s8
	v_add_co_ci_u32_e32 v4, vcc_lo, s10, v8, vcc_lo
	s_mov_b32 s8, exec_lo
	global_store_b64 v[3:4], v[15:16], off
	s_waitcnt_vscnt null, 0x0
	global_atomic_cmpswap_b64 v[8:9], v12, v[13:16], s[6:7] offset:32 glc
	s_waitcnt vmcnt(0)
	v_cmpx_ne_u64_e64 v[8:9], v[15:16]
	s_cbranch_execz .LBB3_621
; %bb.619:
	s_mov_b32 s9, 0
.LBB3_620:                              ; =>This Inner Loop Header: Depth=1
	v_dual_mov_b32 v6, s4 :: v_dual_mov_b32 v7, s5
	s_sleep 1
	global_store_b64 v[3:4], v[8:9], off
	s_waitcnt_vscnt null, 0x0
	global_atomic_cmpswap_b64 v[6:7], v12, v[6:9], s[6:7] offset:32 glc
	s_waitcnt vmcnt(0)
	v_cmp_eq_u64_e32 vcc_lo, v[6:7], v[8:9]
	v_dual_mov_b32 v9, v7 :: v_dual_mov_b32 v8, v6
	s_or_b32 s9, vcc_lo, s9
	s_delay_alu instid0(SALU_CYCLE_1)
	s_and_not1_b32 exec_lo, exec_lo, s9
	s_cbranch_execnz .LBB3_620
.LBB3_621:
	s_or_b32 exec_lo, exec_lo, s8
	v_mov_b32_e32 v7, 0
	s_mov_b32 s9, exec_lo
	s_mov_b32 s8, exec_lo
	v_mbcnt_lo_u32_b32 v6, s9, 0
	global_load_b64 v[3:4], v7, s[6:7] offset:16
	v_cmpx_eq_u32_e32 0, v6
	s_cbranch_execz .LBB3_623
; %bb.622:
	s_bcnt1_i32_b32 s9, s9
	s_delay_alu instid0(SALU_CYCLE_1)
	v_mov_b32_e32 v6, s9
	s_waitcnt vmcnt(0)
	global_atomic_add_u64 v[3:4], v[6:7], off offset:8
.LBB3_623:
	s_or_b32 exec_lo, exec_lo, s8
	s_waitcnt vmcnt(0)
	global_load_b64 v[6:7], v[3:4], off offset:16
	s_waitcnt vmcnt(0)
	v_cmp_eq_u64_e32 vcc_lo, 0, v[6:7]
	s_cbranch_vccnz .LBB3_625
; %bb.624:
	global_load_b32 v3, v[3:4], off offset:24
	v_mov_b32_e32 v4, 0
	s_waitcnt vmcnt(0)
	v_and_b32_e32 v8, 0xffffff, v3
	s_waitcnt_vscnt null, 0x0
	global_store_b64 v[6:7], v[3:4], off
	v_readfirstlane_b32 m0, v8
	s_sendmsg sendmsg(MSG_INTERRUPT)
.LBB3_625:
	s_or_b32 exec_lo, exec_lo, s2
	s_branch .LBB3_629
	.p2align	6
.LBB3_626:                              ;   in Loop: Header=BB3_629 Depth=1
	s_or_b32 exec_lo, exec_lo, s2
	s_delay_alu instid0(VALU_DEP_1) | instskip(NEXT) | instid1(VALU_DEP_1)
	v_readfirstlane_b32 s2, v3
	s_cmp_eq_u32 s2, 0
	s_cbranch_scc1 .LBB3_628
; %bb.627:                              ;   in Loop: Header=BB3_629 Depth=1
	s_sleep 1
	s_cbranch_execnz .LBB3_629
	s_branch .LBB3_631
	.p2align	6
.LBB3_628:
	s_branch .LBB3_631
.LBB3_629:                              ; =>This Inner Loop Header: Depth=1
	v_mov_b32_e32 v3, 1
	s_and_saveexec_b32 s2, s3
	s_cbranch_execz .LBB3_626
; %bb.630:                              ;   in Loop: Header=BB3_629 Depth=1
	global_load_b32 v3, v[0:1], off offset:20 glc
	s_waitcnt vmcnt(0)
	buffer_gl1_inv
	buffer_gl0_inv
	v_and_b32_e32 v3, 1, v3
	s_branch .LBB3_626
.LBB3_631:
	global_load_b64 v[0:1], v[10:11], off
	s_and_saveexec_b32 s2, s3
	s_cbranch_execz .LBB3_635
; %bb.632:
	v_mov_b32_e32 v10, 0
	s_clause 0x2
	global_load_b64 v[3:4], v10, s[6:7] offset:40
	global_load_b64 v[11:12], v10, s[6:7] offset:24 glc
	global_load_b64 v[8:9], v10, s[6:7]
	s_waitcnt vmcnt(2)
	v_add_co_u32 v13, vcc_lo, v3, 1
	v_add_co_ci_u32_e32 v14, vcc_lo, 0, v4, vcc_lo
	s_delay_alu instid0(VALU_DEP_2) | instskip(NEXT) | instid1(VALU_DEP_2)
	v_add_co_u32 v6, vcc_lo, v13, s4
	v_add_co_ci_u32_e32 v7, vcc_lo, s5, v14, vcc_lo
	s_delay_alu instid0(VALU_DEP_1) | instskip(SKIP_1) | instid1(VALU_DEP_1)
	v_cmp_eq_u64_e32 vcc_lo, 0, v[6:7]
	v_dual_cndmask_b32 v7, v7, v14 :: v_dual_cndmask_b32 v6, v6, v13
	v_and_b32_e32 v4, v7, v4
	s_delay_alu instid0(VALU_DEP_2) | instskip(NEXT) | instid1(VALU_DEP_2)
	v_and_b32_e32 v3, v6, v3
	v_mul_lo_u32 v4, v4, 24
	s_delay_alu instid0(VALU_DEP_2) | instskip(SKIP_1) | instid1(VALU_DEP_2)
	v_mul_hi_u32 v13, v3, 24
	v_mul_lo_u32 v3, v3, 24
	v_add_nc_u32_e32 v4, v13, v4
	s_waitcnt vmcnt(0)
	s_delay_alu instid0(VALU_DEP_2) | instskip(SKIP_1) | instid1(VALU_DEP_3)
	v_add_co_u32 v3, vcc_lo, v8, v3
	v_mov_b32_e32 v8, v11
	v_add_co_ci_u32_e32 v4, vcc_lo, v9, v4, vcc_lo
	v_mov_b32_e32 v9, v12
	global_store_b64 v[3:4], v[11:12], off
	s_waitcnt_vscnt null, 0x0
	global_atomic_cmpswap_b64 v[8:9], v10, v[6:9], s[6:7] offset:24 glc
	s_waitcnt vmcnt(0)
	v_cmp_ne_u64_e32 vcc_lo, v[8:9], v[11:12]
	s_and_b32 exec_lo, exec_lo, vcc_lo
	s_cbranch_execz .LBB3_635
; %bb.633:
	s_mov_b32 s3, 0
.LBB3_634:                              ; =>This Inner Loop Header: Depth=1
	s_sleep 1
	global_store_b64 v[3:4], v[8:9], off
	s_waitcnt_vscnt null, 0x0
	global_atomic_cmpswap_b64 v[11:12], v10, v[6:9], s[6:7] offset:24 glc
	s_waitcnt vmcnt(0)
	v_cmp_eq_u64_e32 vcc_lo, v[11:12], v[8:9]
	v_dual_mov_b32 v8, v11 :: v_dual_mov_b32 v9, v12
	s_or_b32 s3, vcc_lo, s3
	s_delay_alu instid0(SALU_CYCLE_1)
	s_and_not1_b32 exec_lo, exec_lo, s3
	s_cbranch_execnz .LBB3_634
.LBB3_635:
	s_or_b32 exec_lo, exec_lo, s2
	v_readfirstlane_b32 s2, v34
	v_mov_b32_e32 v10, 0
	v_mov_b32_e32 v11, 0
	s_delay_alu instid0(VALU_DEP_3) | instskip(NEXT) | instid1(VALU_DEP_1)
	v_cmp_eq_u32_e64 s2, s2, v34
	s_and_saveexec_b32 s3, s2
	s_cbranch_execz .LBB3_641
; %bb.636:
	v_mov_b32_e32 v3, 0
	s_mov_b32 s4, exec_lo
	global_load_b64 v[8:9], v3, s[6:7] offset:24 glc
	s_waitcnt vmcnt(0)
	buffer_gl1_inv
	buffer_gl0_inv
	s_clause 0x1
	global_load_b64 v[6:7], v3, s[6:7] offset:40
	global_load_b64 v[10:11], v3, s[6:7]
	s_waitcnt vmcnt(1)
	v_and_b32_e32 v4, v7, v9
	v_and_b32_e32 v6, v6, v8
	s_delay_alu instid0(VALU_DEP_2) | instskip(NEXT) | instid1(VALU_DEP_2)
	v_mul_lo_u32 v4, v4, 24
	v_mul_hi_u32 v7, v6, 24
	v_mul_lo_u32 v6, v6, 24
	s_delay_alu instid0(VALU_DEP_2) | instskip(SKIP_1) | instid1(VALU_DEP_2)
	v_add_nc_u32_e32 v4, v7, v4
	s_waitcnt vmcnt(0)
	v_add_co_u32 v6, vcc_lo, v10, v6
	s_delay_alu instid0(VALU_DEP_2)
	v_add_co_ci_u32_e32 v7, vcc_lo, v11, v4, vcc_lo
	global_load_b64 v[6:7], v[6:7], off glc
	s_waitcnt vmcnt(0)
	global_atomic_cmpswap_b64 v[10:11], v3, v[6:9], s[6:7] offset:24 glc
	s_waitcnt vmcnt(0)
	buffer_gl1_inv
	buffer_gl0_inv
	v_cmpx_ne_u64_e64 v[10:11], v[8:9]
	s_cbranch_execz .LBB3_640
; %bb.637:
	s_mov_b32 s5, 0
	.p2align	6
.LBB3_638:                              ; =>This Inner Loop Header: Depth=1
	s_sleep 1
	s_clause 0x1
	global_load_b64 v[6:7], v3, s[6:7] offset:40
	global_load_b64 v[12:13], v3, s[6:7]
	v_dual_mov_b32 v8, v10 :: v_dual_mov_b32 v9, v11
	s_waitcnt vmcnt(1)
	s_delay_alu instid0(VALU_DEP_1) | instskip(SKIP_1) | instid1(VALU_DEP_1)
	v_and_b32_e32 v4, v6, v8
	s_waitcnt vmcnt(0)
	v_mad_u64_u32 v[10:11], null, v4, 24, v[12:13]
	v_and_b32_e32 v12, v7, v9
	s_delay_alu instid0(VALU_DEP_2) | instskip(NEXT) | instid1(VALU_DEP_1)
	v_mov_b32_e32 v4, v11
	v_mad_u64_u32 v[6:7], null, v12, 24, v[4:5]
	s_delay_alu instid0(VALU_DEP_1)
	v_mov_b32_e32 v11, v6
	global_load_b64 v[6:7], v[10:11], off glc
	s_waitcnt vmcnt(0)
	global_atomic_cmpswap_b64 v[10:11], v3, v[6:9], s[6:7] offset:24 glc
	s_waitcnt vmcnt(0)
	buffer_gl1_inv
	buffer_gl0_inv
	v_cmp_eq_u64_e32 vcc_lo, v[10:11], v[8:9]
	s_or_b32 s5, vcc_lo, s5
	s_delay_alu instid0(SALU_CYCLE_1)
	s_and_not1_b32 exec_lo, exec_lo, s5
	s_cbranch_execnz .LBB3_638
; %bb.639:
	s_or_b32 exec_lo, exec_lo, s5
.LBB3_640:
	s_delay_alu instid0(SALU_CYCLE_1)
	s_or_b32 exec_lo, exec_lo, s4
.LBB3_641:
	s_delay_alu instid0(SALU_CYCLE_1)
	s_or_b32 exec_lo, exec_lo, s3
	v_mov_b32_e32 v3, 0
	v_readfirstlane_b32 s4, v10
	v_readfirstlane_b32 s5, v11
	s_mov_b32 s3, exec_lo
	s_clause 0x1
	global_load_b64 v[12:13], v3, s[6:7] offset:40
	global_load_b128 v[6:9], v3, s[6:7]
	s_waitcnt vmcnt(1)
	v_readfirstlane_b32 s8, v12
	v_readfirstlane_b32 s9, v13
	s_delay_alu instid0(VALU_DEP_1) | instskip(NEXT) | instid1(SALU_CYCLE_1)
	s_and_b64 s[8:9], s[4:5], s[8:9]
	s_mul_i32 s10, s9, 24
	s_mul_hi_u32 s11, s8, 24
	s_mul_i32 s12, s8, 24
	s_add_i32 s11, s11, s10
	s_waitcnt vmcnt(0)
	v_add_co_u32 v10, vcc_lo, v6, s12
	v_add_co_ci_u32_e32 v11, vcc_lo, s11, v7, vcc_lo
	s_and_saveexec_b32 s10, s2
	s_cbranch_execz .LBB3_643
; %bb.642:
	v_dual_mov_b32 v12, s3 :: v_dual_mov_b32 v13, v3
	v_dual_mov_b32 v14, 2 :: v_dual_mov_b32 v15, 1
	global_store_b128 v[10:11], v[12:15], off offset:8
.LBB3_643:
	s_or_b32 exec_lo, exec_lo, s10
	s_lshl_b64 s[8:9], s[8:9], 12
	v_and_or_b32 v0, 0xffffff1f, v0, 32
	v_add_co_u32 v4, vcc_lo, v8, s8
	v_add_co_ci_u32_e32 v9, vcc_lo, s9, v9, vcc_lo
	s_mov_b32 s8, 0
	s_delay_alu instid0(VALU_DEP_2)
	v_add_co_u32 v8, vcc_lo, v4, v33
	s_mov_b32 s11, s8
	s_mov_b32 s9, s8
	;; [unrolled: 1-line block ×3, first 2 shown]
	v_readfirstlane_b32 s12, v4
	v_readfirstlane_b32 s13, v9
	v_dual_mov_b32 v15, s11 :: v_dual_mov_b32 v14, s10
	v_add_co_ci_u32_e32 v9, vcc_lo, 0, v9, vcc_lo
	v_dual_mov_b32 v13, s9 :: v_dual_mov_b32 v12, s8
	s_clause 0x3
	global_store_b128 v33, v[0:3], s[12:13]
	global_store_b128 v33, v[12:15], s[12:13] offset:16
	global_store_b128 v33, v[12:15], s[12:13] offset:32
	;; [unrolled: 1-line block ×3, first 2 shown]
	s_and_saveexec_b32 s3, s2
	s_cbranch_execz .LBB3_651
; %bb.644:
	v_dual_mov_b32 v4, 0 :: v_dual_mov_b32 v13, s5
	v_mov_b32_e32 v12, s4
	s_clause 0x1
	global_load_b64 v[14:15], v4, s[6:7] offset:32 glc
	global_load_b64 v[0:1], v4, s[6:7] offset:40
	s_waitcnt vmcnt(0)
	v_readfirstlane_b32 s8, v0
	v_readfirstlane_b32 s9, v1
	s_delay_alu instid0(VALU_DEP_1) | instskip(NEXT) | instid1(SALU_CYCLE_1)
	s_and_b64 s[8:9], s[8:9], s[4:5]
	s_mul_i32 s9, s9, 24
	s_mul_hi_u32 s10, s8, 24
	s_mul_i32 s8, s8, 24
	s_add_i32 s10, s10, s9
	v_add_co_u32 v6, vcc_lo, v6, s8
	v_add_co_ci_u32_e32 v7, vcc_lo, s10, v7, vcc_lo
	s_mov_b32 s8, exec_lo
	global_store_b64 v[6:7], v[14:15], off
	s_waitcnt_vscnt null, 0x0
	global_atomic_cmpswap_b64 v[2:3], v4, v[12:15], s[6:7] offset:32 glc
	s_waitcnt vmcnt(0)
	v_cmpx_ne_u64_e64 v[2:3], v[14:15]
	s_cbranch_execz .LBB3_647
; %bb.645:
	s_mov_b32 s9, 0
.LBB3_646:                              ; =>This Inner Loop Header: Depth=1
	v_dual_mov_b32 v0, s4 :: v_dual_mov_b32 v1, s5
	s_sleep 1
	global_store_b64 v[6:7], v[2:3], off
	s_waitcnt_vscnt null, 0x0
	global_atomic_cmpswap_b64 v[0:1], v4, v[0:3], s[6:7] offset:32 glc
	s_waitcnt vmcnt(0)
	v_cmp_eq_u64_e32 vcc_lo, v[0:1], v[2:3]
	v_dual_mov_b32 v3, v1 :: v_dual_mov_b32 v2, v0
	s_or_b32 s9, vcc_lo, s9
	s_delay_alu instid0(SALU_CYCLE_1)
	s_and_not1_b32 exec_lo, exec_lo, s9
	s_cbranch_execnz .LBB3_646
.LBB3_647:
	s_or_b32 exec_lo, exec_lo, s8
	v_mov_b32_e32 v3, 0
	s_mov_b32 s9, exec_lo
	s_mov_b32 s8, exec_lo
	v_mbcnt_lo_u32_b32 v2, s9, 0
	global_load_b64 v[0:1], v3, s[6:7] offset:16
	v_cmpx_eq_u32_e32 0, v2
	s_cbranch_execz .LBB3_649
; %bb.648:
	s_bcnt1_i32_b32 s9, s9
	s_delay_alu instid0(SALU_CYCLE_1)
	v_mov_b32_e32 v2, s9
	s_waitcnt vmcnt(0)
	global_atomic_add_u64 v[0:1], v[2:3], off offset:8
.LBB3_649:
	s_or_b32 exec_lo, exec_lo, s8
	s_waitcnt vmcnt(0)
	global_load_b64 v[2:3], v[0:1], off offset:16
	s_waitcnt vmcnt(0)
	v_cmp_eq_u64_e32 vcc_lo, 0, v[2:3]
	s_cbranch_vccnz .LBB3_651
; %bb.650:
	global_load_b32 v0, v[0:1], off offset:24
	s_waitcnt vmcnt(0)
	v_dual_mov_b32 v1, 0 :: v_dual_and_b32 v4, 0xffffff, v0
	s_waitcnt_vscnt null, 0x0
	global_store_b64 v[2:3], v[0:1], off
	v_readfirstlane_b32 m0, v4
	s_sendmsg sendmsg(MSG_INTERRUPT)
.LBB3_651:
	s_or_b32 exec_lo, exec_lo, s3
	s_branch .LBB3_655
	.p2align	6
.LBB3_652:                              ;   in Loop: Header=BB3_655 Depth=1
	s_or_b32 exec_lo, exec_lo, s3
	s_delay_alu instid0(VALU_DEP_1) | instskip(NEXT) | instid1(VALU_DEP_1)
	v_readfirstlane_b32 s3, v0
	s_cmp_eq_u32 s3, 0
	s_cbranch_scc1 .LBB3_654
; %bb.653:                              ;   in Loop: Header=BB3_655 Depth=1
	s_sleep 1
	s_cbranch_execnz .LBB3_655
	s_branch .LBB3_657
	.p2align	6
.LBB3_654:
	s_branch .LBB3_657
.LBB3_655:                              ; =>This Inner Loop Header: Depth=1
	v_mov_b32_e32 v0, 1
	s_and_saveexec_b32 s3, s2
	s_cbranch_execz .LBB3_652
; %bb.656:                              ;   in Loop: Header=BB3_655 Depth=1
	global_load_b32 v0, v[10:11], off offset:20 glc
	s_waitcnt vmcnt(0)
	buffer_gl1_inv
	buffer_gl0_inv
	v_and_b32_e32 v0, 1, v0
	s_branch .LBB3_652
.LBB3_657:
	global_load_b64 v[0:1], v[8:9], off
	s_and_saveexec_b32 s3, s2
	s_cbranch_execz .LBB3_661
; %bb.658:
	v_mov_b32_e32 v4, 0
	s_clause 0x2
	global_load_b64 v[2:3], v4, s[6:7] offset:40
	global_load_b64 v[10:11], v4, s[6:7] offset:24 glc
	global_load_b64 v[8:9], v4, s[6:7]
	s_waitcnt vmcnt(2)
	v_add_co_u32 v12, vcc_lo, v2, 1
	v_add_co_ci_u32_e32 v13, vcc_lo, 0, v3, vcc_lo
	s_delay_alu instid0(VALU_DEP_2) | instskip(NEXT) | instid1(VALU_DEP_2)
	v_add_co_u32 v6, vcc_lo, v12, s4
	v_add_co_ci_u32_e32 v7, vcc_lo, s5, v13, vcc_lo
	s_delay_alu instid0(VALU_DEP_1) | instskip(SKIP_1) | instid1(VALU_DEP_1)
	v_cmp_eq_u64_e32 vcc_lo, 0, v[6:7]
	v_dual_cndmask_b32 v7, v7, v13 :: v_dual_cndmask_b32 v6, v6, v12
	v_and_b32_e32 v3, v7, v3
	s_delay_alu instid0(VALU_DEP_2) | instskip(NEXT) | instid1(VALU_DEP_2)
	v_and_b32_e32 v2, v6, v2
	v_mul_lo_u32 v3, v3, 24
	s_delay_alu instid0(VALU_DEP_2) | instskip(SKIP_1) | instid1(VALU_DEP_2)
	v_mul_hi_u32 v12, v2, 24
	v_mul_lo_u32 v2, v2, 24
	v_add_nc_u32_e32 v3, v12, v3
	s_waitcnt vmcnt(0)
	s_delay_alu instid0(VALU_DEP_2) | instskip(SKIP_1) | instid1(VALU_DEP_3)
	v_add_co_u32 v2, vcc_lo, v8, v2
	v_mov_b32_e32 v8, v10
	v_add_co_ci_u32_e32 v3, vcc_lo, v9, v3, vcc_lo
	v_mov_b32_e32 v9, v11
	global_store_b64 v[2:3], v[10:11], off
	s_waitcnt_vscnt null, 0x0
	global_atomic_cmpswap_b64 v[8:9], v4, v[6:9], s[6:7] offset:24 glc
	s_waitcnt vmcnt(0)
	v_cmp_ne_u64_e32 vcc_lo, v[8:9], v[10:11]
	s_and_b32 exec_lo, exec_lo, vcc_lo
	s_cbranch_execz .LBB3_661
; %bb.659:
	s_mov_b32 s2, 0
.LBB3_660:                              ; =>This Inner Loop Header: Depth=1
	s_sleep 1
	global_store_b64 v[2:3], v[8:9], off
	s_waitcnt_vscnt null, 0x0
	global_atomic_cmpswap_b64 v[10:11], v4, v[6:9], s[6:7] offset:24 glc
	s_waitcnt vmcnt(0)
	v_cmp_eq_u64_e32 vcc_lo, v[10:11], v[8:9]
	v_dual_mov_b32 v8, v10 :: v_dual_mov_b32 v9, v11
	s_or_b32 s2, vcc_lo, s2
	s_delay_alu instid0(SALU_CYCLE_1)
	s_and_not1_b32 exec_lo, exec_lo, s2
	s_cbranch_execnz .LBB3_660
.LBB3_661:
	s_or_b32 exec_lo, exec_lo, s3
	v_readfirstlane_b32 s2, v34
	v_mov_b32_e32 v10, 0
	v_mov_b32_e32 v11, 0
	s_delay_alu instid0(VALU_DEP_3) | instskip(NEXT) | instid1(VALU_DEP_1)
	v_cmp_eq_u32_e64 s2, s2, v34
	s_and_saveexec_b32 s3, s2
	s_cbranch_execz .LBB3_667
; %bb.662:
	v_mov_b32_e32 v2, 0
	s_mov_b32 s4, exec_lo
	global_load_b64 v[8:9], v2, s[6:7] offset:24 glc
	s_waitcnt vmcnt(0)
	buffer_gl1_inv
	buffer_gl0_inv
	s_clause 0x1
	global_load_b64 v[3:4], v2, s[6:7] offset:40
	global_load_b64 v[6:7], v2, s[6:7]
	s_waitcnt vmcnt(1)
	v_and_b32_e32 v3, v3, v8
	v_and_b32_e32 v4, v4, v9
	s_delay_alu instid0(VALU_DEP_2) | instskip(NEXT) | instid1(VALU_DEP_2)
	v_mul_hi_u32 v10, v3, 24
	v_mul_lo_u32 v4, v4, 24
	v_mul_lo_u32 v3, v3, 24
	s_delay_alu instid0(VALU_DEP_2) | instskip(SKIP_1) | instid1(VALU_DEP_2)
	v_add_nc_u32_e32 v4, v10, v4
	s_waitcnt vmcnt(0)
	v_add_co_u32 v3, vcc_lo, v6, v3
	s_delay_alu instid0(VALU_DEP_2)
	v_add_co_ci_u32_e32 v4, vcc_lo, v7, v4, vcc_lo
	global_load_b64 v[6:7], v[3:4], off glc
	s_waitcnt vmcnt(0)
	global_atomic_cmpswap_b64 v[10:11], v2, v[6:9], s[6:7] offset:24 glc
	s_waitcnt vmcnt(0)
	buffer_gl1_inv
	buffer_gl0_inv
	v_cmpx_ne_u64_e64 v[10:11], v[8:9]
	s_cbranch_execz .LBB3_666
; %bb.663:
	s_mov_b32 s5, 0
	.p2align	6
.LBB3_664:                              ; =>This Inner Loop Header: Depth=1
	s_sleep 1
	s_clause 0x1
	global_load_b64 v[3:4], v2, s[6:7] offset:40
	global_load_b64 v[6:7], v2, s[6:7]
	v_dual_mov_b32 v8, v10 :: v_dual_mov_b32 v9, v11
	s_waitcnt vmcnt(1)
	s_delay_alu instid0(VALU_DEP_1) | instskip(SKIP_1) | instid1(VALU_DEP_1)
	v_and_b32_e32 v3, v3, v8
	s_waitcnt vmcnt(0)
	v_mad_u64_u32 v[10:11], null, v3, 24, v[6:7]
	s_delay_alu instid0(VALU_DEP_1) | instskip(NEXT) | instid1(VALU_DEP_1)
	v_dual_mov_b32 v3, v11 :: v_dual_and_b32 v4, v4, v9
	v_mad_u64_u32 v[6:7], null, v4, 24, v[3:4]
	s_delay_alu instid0(VALU_DEP_1)
	v_mov_b32_e32 v11, v6
	global_load_b64 v[6:7], v[10:11], off glc
	s_waitcnt vmcnt(0)
	global_atomic_cmpswap_b64 v[10:11], v2, v[6:9], s[6:7] offset:24 glc
	s_waitcnt vmcnt(0)
	buffer_gl1_inv
	buffer_gl0_inv
	v_cmp_eq_u64_e32 vcc_lo, v[10:11], v[8:9]
	s_or_b32 s5, vcc_lo, s5
	s_delay_alu instid0(SALU_CYCLE_1)
	s_and_not1_b32 exec_lo, exec_lo, s5
	s_cbranch_execnz .LBB3_664
; %bb.665:
	s_or_b32 exec_lo, exec_lo, s5
.LBB3_666:
	s_delay_alu instid0(SALU_CYCLE_1)
	s_or_b32 exec_lo, exec_lo, s4
.LBB3_667:
	s_delay_alu instid0(SALU_CYCLE_1)
	s_or_b32 exec_lo, exec_lo, s3
	v_mov_b32_e32 v3, 0
	v_readfirstlane_b32 s4, v10
	v_readfirstlane_b32 s5, v11
	s_mov_b32 s3, exec_lo
	s_clause 0x1
	global_load_b64 v[12:13], v3, s[6:7] offset:40
	global_load_b128 v[6:9], v3, s[6:7]
	s_waitcnt vmcnt(1)
	v_readfirstlane_b32 s8, v12
	v_readfirstlane_b32 s9, v13
	s_delay_alu instid0(VALU_DEP_1) | instskip(NEXT) | instid1(SALU_CYCLE_1)
	s_and_b64 s[8:9], s[4:5], s[8:9]
	s_mul_i32 s10, s9, 24
	s_mul_hi_u32 s11, s8, 24
	s_mul_i32 s12, s8, 24
	s_add_i32 s11, s11, s10
	s_waitcnt vmcnt(0)
	v_add_co_u32 v10, vcc_lo, v6, s12
	v_add_co_ci_u32_e32 v11, vcc_lo, s11, v7, vcc_lo
	s_and_saveexec_b32 s10, s2
	s_cbranch_execz .LBB3_669
; %bb.668:
	v_dual_mov_b32 v2, s3 :: v_dual_mov_b32 v15, 1
	v_dual_mov_b32 v14, 2 :: v_dual_mov_b32 v13, v3
	s_delay_alu instid0(VALU_DEP_2)
	v_mov_b32_e32 v12, v2
	global_store_b128 v[10:11], v[12:15], off offset:8
.LBB3_669:
	s_or_b32 exec_lo, exec_lo, s10
	s_lshl_b64 s[8:9], s[8:9], 12
	v_and_or_b32 v0, 0xffffff1d, v0, 34
	v_add_co_u32 v4, vcc_lo, v8, s8
	v_add_co_ci_u32_e32 v8, vcc_lo, s9, v9, vcc_lo
	s_mov_b32 s8, 0
	s_delay_alu instid0(VALU_DEP_2)
	v_readfirstlane_b32 s12, v4
	s_mov_b32 s11, s8
	s_mov_b32 s9, s8
	;; [unrolled: 1-line block ×3, first 2 shown]
	v_dual_mov_b32 v2, s18 :: v_dual_mov_b32 v15, s11
	v_readfirstlane_b32 s13, v8
	v_dual_mov_b32 v14, s10 :: v_dual_mov_b32 v13, s9
	v_mov_b32_e32 v12, s8
	s_clause 0x3
	global_store_b128 v33, v[0:3], s[12:13]
	global_store_b128 v33, v[12:15], s[12:13] offset:16
	global_store_b128 v33, v[12:15], s[12:13] offset:32
	;; [unrolled: 1-line block ×3, first 2 shown]
	s_and_saveexec_b32 s3, s2
	s_cbranch_execz .LBB3_677
; %bb.670:
	v_dual_mov_b32 v4, 0 :: v_dual_mov_b32 v13, s5
	v_mov_b32_e32 v12, s4
	s_clause 0x1
	global_load_b64 v[14:15], v4, s[6:7] offset:32 glc
	global_load_b64 v[0:1], v4, s[6:7] offset:40
	s_waitcnt vmcnt(0)
	v_readfirstlane_b32 s8, v0
	v_readfirstlane_b32 s9, v1
	s_delay_alu instid0(VALU_DEP_1) | instskip(NEXT) | instid1(SALU_CYCLE_1)
	s_and_b64 s[8:9], s[8:9], s[4:5]
	s_mul_i32 s9, s9, 24
	s_mul_hi_u32 s10, s8, 24
	s_mul_i32 s8, s8, 24
	s_add_i32 s10, s10, s9
	v_add_co_u32 v6, vcc_lo, v6, s8
	v_add_co_ci_u32_e32 v7, vcc_lo, s10, v7, vcc_lo
	s_mov_b32 s8, exec_lo
	global_store_b64 v[6:7], v[14:15], off
	s_waitcnt_vscnt null, 0x0
	global_atomic_cmpswap_b64 v[2:3], v4, v[12:15], s[6:7] offset:32 glc
	s_waitcnt vmcnt(0)
	v_cmpx_ne_u64_e64 v[2:3], v[14:15]
	s_cbranch_execz .LBB3_673
; %bb.671:
	s_mov_b32 s9, 0
.LBB3_672:                              ; =>This Inner Loop Header: Depth=1
	v_dual_mov_b32 v0, s4 :: v_dual_mov_b32 v1, s5
	s_sleep 1
	global_store_b64 v[6:7], v[2:3], off
	s_waitcnt_vscnt null, 0x0
	global_atomic_cmpswap_b64 v[0:1], v4, v[0:3], s[6:7] offset:32 glc
	s_waitcnt vmcnt(0)
	v_cmp_eq_u64_e32 vcc_lo, v[0:1], v[2:3]
	v_dual_mov_b32 v3, v1 :: v_dual_mov_b32 v2, v0
	s_or_b32 s9, vcc_lo, s9
	s_delay_alu instid0(SALU_CYCLE_1)
	s_and_not1_b32 exec_lo, exec_lo, s9
	s_cbranch_execnz .LBB3_672
.LBB3_673:
	s_or_b32 exec_lo, exec_lo, s8
	v_mov_b32_e32 v3, 0
	s_mov_b32 s9, exec_lo
	s_mov_b32 s8, exec_lo
	v_mbcnt_lo_u32_b32 v2, s9, 0
	global_load_b64 v[0:1], v3, s[6:7] offset:16
	v_cmpx_eq_u32_e32 0, v2
	s_cbranch_execz .LBB3_675
; %bb.674:
	s_bcnt1_i32_b32 s9, s9
	s_delay_alu instid0(SALU_CYCLE_1)
	v_mov_b32_e32 v2, s9
	s_waitcnt vmcnt(0)
	global_atomic_add_u64 v[0:1], v[2:3], off offset:8
.LBB3_675:
	s_or_b32 exec_lo, exec_lo, s8
	s_waitcnt vmcnt(0)
	global_load_b64 v[2:3], v[0:1], off offset:16
	s_waitcnt vmcnt(0)
	v_cmp_eq_u64_e32 vcc_lo, 0, v[2:3]
	s_cbranch_vccnz .LBB3_677
; %bb.676:
	global_load_b32 v0, v[0:1], off offset:24
	s_waitcnt vmcnt(0)
	v_dual_mov_b32 v1, 0 :: v_dual_and_b32 v4, 0xffffff, v0
	s_waitcnt_vscnt null, 0x0
	global_store_b64 v[2:3], v[0:1], off
	v_readfirstlane_b32 m0, v4
	s_sendmsg sendmsg(MSG_INTERRUPT)
.LBB3_677:
	s_or_b32 exec_lo, exec_lo, s3
	s_branch .LBB3_681
	.p2align	6
.LBB3_678:                              ;   in Loop: Header=BB3_681 Depth=1
	s_or_b32 exec_lo, exec_lo, s3
	s_delay_alu instid0(VALU_DEP_1) | instskip(NEXT) | instid1(VALU_DEP_1)
	v_readfirstlane_b32 s3, v0
	s_cmp_eq_u32 s3, 0
	s_cbranch_scc1 .LBB3_680
; %bb.679:                              ;   in Loop: Header=BB3_681 Depth=1
	s_sleep 1
	s_cbranch_execnz .LBB3_681
	s_branch .LBB3_683
	.p2align	6
.LBB3_680:
	s_branch .LBB3_683
.LBB3_681:                              ; =>This Inner Loop Header: Depth=1
	v_mov_b32_e32 v0, 1
	s_and_saveexec_b32 s3, s2
	s_cbranch_execz .LBB3_678
; %bb.682:                              ;   in Loop: Header=BB3_681 Depth=1
	global_load_b32 v0, v[10:11], off offset:20 glc
	s_waitcnt vmcnt(0)
	buffer_gl1_inv
	buffer_gl0_inv
	v_and_b32_e32 v0, 1, v0
	s_branch .LBB3_678
.LBB3_683:
	s_and_saveexec_b32 s3, s2
	s_cbranch_execz .LBB3_687
; %bb.684:
	v_mov_b32_e32 v4, 0
	s_clause 0x2
	global_load_b64 v[2:3], v4, s[6:7] offset:40
	global_load_b64 v[8:9], v4, s[6:7] offset:24 glc
	global_load_b64 v[6:7], v4, s[6:7]
	s_waitcnt vmcnt(2)
	v_add_co_u32 v10, vcc_lo, v2, 1
	v_add_co_ci_u32_e32 v11, vcc_lo, 0, v3, vcc_lo
	s_delay_alu instid0(VALU_DEP_2) | instskip(NEXT) | instid1(VALU_DEP_2)
	v_add_co_u32 v0, vcc_lo, v10, s4
	v_add_co_ci_u32_e32 v1, vcc_lo, s5, v11, vcc_lo
	s_delay_alu instid0(VALU_DEP_1) | instskip(SKIP_1) | instid1(VALU_DEP_1)
	v_cmp_eq_u64_e32 vcc_lo, 0, v[0:1]
	v_dual_cndmask_b32 v1, v1, v11 :: v_dual_cndmask_b32 v0, v0, v10
	v_and_b32_e32 v3, v1, v3
	s_delay_alu instid0(VALU_DEP_2) | instskip(NEXT) | instid1(VALU_DEP_2)
	v_and_b32_e32 v2, v0, v2
	v_mul_lo_u32 v3, v3, 24
	s_delay_alu instid0(VALU_DEP_2) | instskip(SKIP_1) | instid1(VALU_DEP_2)
	v_mul_hi_u32 v10, v2, 24
	v_mul_lo_u32 v2, v2, 24
	v_add_nc_u32_e32 v3, v10, v3
	s_waitcnt vmcnt(0)
	s_delay_alu instid0(VALU_DEP_2) | instskip(SKIP_1) | instid1(VALU_DEP_3)
	v_add_co_u32 v6, vcc_lo, v6, v2
	v_mov_b32_e32 v2, v8
	v_add_co_ci_u32_e32 v7, vcc_lo, v7, v3, vcc_lo
	v_mov_b32_e32 v3, v9
	global_store_b64 v[6:7], v[8:9], off
	s_waitcnt_vscnt null, 0x0
	global_atomic_cmpswap_b64 v[2:3], v4, v[0:3], s[6:7] offset:24 glc
	s_waitcnt vmcnt(0)
	v_cmp_ne_u64_e32 vcc_lo, v[2:3], v[8:9]
	s_and_b32 exec_lo, exec_lo, vcc_lo
	s_cbranch_execz .LBB3_687
; %bb.685:
	s_mov_b32 s2, 0
.LBB3_686:                              ; =>This Inner Loop Header: Depth=1
	s_sleep 1
	global_store_b64 v[6:7], v[2:3], off
	s_waitcnt_vscnt null, 0x0
	global_atomic_cmpswap_b64 v[8:9], v4, v[0:3], s[6:7] offset:24 glc
	s_waitcnt vmcnt(0)
	v_cmp_eq_u64_e32 vcc_lo, v[8:9], v[2:3]
	v_dual_mov_b32 v2, v8 :: v_dual_mov_b32 v3, v9
	s_or_b32 s2, vcc_lo, s2
	s_delay_alu instid0(SALU_CYCLE_1)
	s_and_not1_b32 exec_lo, exec_lo, s2
	s_cbranch_execnz .LBB3_686
.LBB3_687:
	s_or_b32 exec_lo, exec_lo, s3
	v_cvt_f32_u32_e32 v0, s20
	s_sub_i32 s2, 0, s20
	s_load_b64 s[0:1], s[0:1], 0x8
	s_delay_alu instid0(VALU_DEP_1) | instskip(SKIP_2) | instid1(VALU_DEP_1)
	v_rcp_iflag_f32_e32 v0, v0
	s_waitcnt_depctr 0xfff
	v_mul_f32_e32 v0, 0x4f7ffffe, v0
	v_cvt_u32_f32_e32 v0, v0
	s_delay_alu instid0(VALU_DEP_1) | instskip(NEXT) | instid1(VALU_DEP_1)
	v_mul_lo_u32 v1, s2, v0
	v_mul_hi_u32 v1, v0, v1
	s_delay_alu instid0(VALU_DEP_1) | instskip(NEXT) | instid1(VALU_DEP_1)
	v_add_nc_u32_e32 v0, v0, v1
	v_mul_hi_u32 v0, v32, v0
	s_delay_alu instid0(VALU_DEP_1) | instskip(SKIP_1) | instid1(VALU_DEP_2)
	v_mul_lo_u32 v1, v0, s20
	v_add_nc_u32_e32 v2, 1, v0
	v_sub_nc_u32_e32 v1, v32, v1
	s_delay_alu instid0(VALU_DEP_1) | instskip(SKIP_1) | instid1(VALU_DEP_2)
	v_subrev_nc_u32_e32 v3, s20, v1
	v_cmp_le_u32_e32 vcc_lo, s20, v1
	v_dual_cndmask_b32 v1, v1, v3 :: v_dual_cndmask_b32 v0, v0, v2
	s_delay_alu instid0(VALU_DEP_1) | instskip(NEXT) | instid1(VALU_DEP_2)
	v_cmp_le_u32_e32 vcc_lo, s20, v1
	v_add_nc_u32_e32 v2, 1, v0
	s_delay_alu instid0(VALU_DEP_1) | instskip(NEXT) | instid1(VALU_DEP_1)
	v_cndmask_b32_e32 v0, v0, v2, vcc_lo
	v_lshlrev_b32_e32 v0, 2, v0
	s_waitcnt lgkmcnt(0)
	global_store_b32 v0, v5, s[0:1]
.LBB3_688:
	s_nop 0
	s_sendmsg sendmsg(MSG_DEALLOC_VGPRS)
	s_endpgm
	.section	.rodata,"a",@progbits
	.p2align	6, 0x0
	.amdhsa_kernel _Z35kernel_cg_coalesced_group_partitionjPibS_i
		.amdhsa_group_segment_fixed_size 0
		.amdhsa_private_segment_fixed_size 0
		.amdhsa_kernarg_size 296
		.amdhsa_user_sgpr_count 15
		.amdhsa_user_sgpr_dispatch_ptr 0
		.amdhsa_user_sgpr_queue_ptr 0
		.amdhsa_user_sgpr_kernarg_segment_ptr 1
		.amdhsa_user_sgpr_dispatch_id 0
		.amdhsa_user_sgpr_private_segment_size 0
		.amdhsa_wavefront_size32 1
		.amdhsa_uses_dynamic_stack 0
		.amdhsa_enable_private_segment 0
		.amdhsa_system_sgpr_workgroup_id_x 1
		.amdhsa_system_sgpr_workgroup_id_y 0
		.amdhsa_system_sgpr_workgroup_id_z 0
		.amdhsa_system_sgpr_workgroup_info 0
		.amdhsa_system_vgpr_workitem_id 0
		.amdhsa_next_free_vgpr 38
		.amdhsa_next_free_sgpr 30
		.amdhsa_reserve_vcc 1
		.amdhsa_float_round_mode_32 0
		.amdhsa_float_round_mode_16_64 0
		.amdhsa_float_denorm_mode_32 3
		.amdhsa_float_denorm_mode_16_64 3
		.amdhsa_dx10_clamp 1
		.amdhsa_ieee_mode 1
		.amdhsa_fp16_overflow 0
		.amdhsa_workgroup_processor_mode 1
		.amdhsa_memory_ordered 1
		.amdhsa_forward_progress 0
		.amdhsa_shared_vgpr_count 0
		.amdhsa_exception_fp_ieee_invalid_op 0
		.amdhsa_exception_fp_denorm_src 0
		.amdhsa_exception_fp_ieee_div_zero 0
		.amdhsa_exception_fp_ieee_overflow 0
		.amdhsa_exception_fp_ieee_underflow 0
		.amdhsa_exception_fp_ieee_inexact 0
		.amdhsa_exception_int_div_zero 0
	.end_amdhsa_kernel
	.text
.Lfunc_end3:
	.size	_Z35kernel_cg_coalesced_group_partitionjPibS_i, .Lfunc_end3-_Z35kernel_cg_coalesced_group_partitionjPibS_i
                                        ; -- End function
	.section	.AMDGPU.csdata,"",@progbits
; Kernel info:
; codeLenInByte = 29376
; NumSgprs: 32
; NumVgprs: 38
; ScratchSize: 0
; MemoryBound: 0
; FloatMode: 240
; IeeeMode: 1
; LDSByteSize: 0 bytes/workgroup (compile time only)
; SGPRBlocks: 3
; VGPRBlocks: 4
; NumSGPRsForWavesPerEU: 32
; NumVGPRsForWavesPerEU: 38
; Occupancy: 16
; WaveLimiterHint : 1
; COMPUTE_PGM_RSRC2:SCRATCH_EN: 0
; COMPUTE_PGM_RSRC2:USER_SGPR: 15
; COMPUTE_PGM_RSRC2:TRAP_HANDLER: 0
; COMPUTE_PGM_RSRC2:TGID_X_EN: 1
; COMPUTE_PGM_RSRC2:TGID_Y_EN: 0
; COMPUTE_PGM_RSRC2:TGID_Z_EN: 0
; COMPUTE_PGM_RSRC2:TIDIG_COMP_CNT: 0
	.text
	.protected	_Z30kernel_coalesced_active_groupsv ; -- Begin function _Z30kernel_coalesced_active_groupsv
	.globl	_Z30kernel_coalesced_active_groupsv
	.p2align	8
	.type	_Z30kernel_coalesced_active_groupsv,@function
_Z30kernel_coalesced_active_groupsv:    ; @_Z30kernel_coalesced_active_groupsv
; %bb.0:
	s_load_b32 s2, s[0:1], 0xc
	v_bfe_u32 v1, v0, 10, 10
	v_bfe_u32 v2, v0, 20, 10
	v_and_b32_e32 v0, 0x3ff, v0
	s_mov_b32 s16, exec_lo
	s_waitcnt lgkmcnt(0)
	s_lshr_b32 s3, s2, 16
	s_and_b32 s2, s2, 0xffff
	v_mad_u32_u24 v1, v2, s3, v1
	s_delay_alu instid0(VALU_DEP_1) | instskip(NEXT) | instid1(VALU_DEP_1)
	v_mad_u64_u32 v[2:3], null, v1, s2, v[0:1]
	v_cmpx_eq_u32_e32 0, v2
	s_cbranch_execz .LBB4_133
; %bb.1:
	s_load_b64 s[4:5], s[0:1], 0x50
	v_mbcnt_lo_u32_b32 v30, -1, 0
	v_mov_b32_e32 v0, 0
	v_mov_b32_e32 v1, 0
	s_delay_alu instid0(VALU_DEP_3) | instskip(NEXT) | instid1(VALU_DEP_1)
	v_readfirstlane_b32 s2, v30
	v_cmp_eq_u32_e64 s2, s2, v30
	s_delay_alu instid0(VALU_DEP_1)
	s_and_saveexec_b32 s3, s2
	s_cbranch_execz .LBB4_7
; %bb.2:
	v_mov_b32_e32 v3, 0
	s_mov_b32 s6, exec_lo
	s_waitcnt lgkmcnt(0)
	global_load_b64 v[6:7], v3, s[4:5] offset:24 glc
	s_waitcnt vmcnt(0)
	buffer_gl1_inv
	buffer_gl0_inv
	s_clause 0x1
	global_load_b64 v[0:1], v3, s[4:5] offset:40
	global_load_b64 v[4:5], v3, s[4:5]
	s_waitcnt vmcnt(1)
	v_and_b32_e32 v0, v0, v6
	v_and_b32_e32 v1, v1, v7
	s_delay_alu instid0(VALU_DEP_2) | instskip(NEXT) | instid1(VALU_DEP_2)
	v_mul_hi_u32 v8, v0, 24
	v_mul_lo_u32 v1, v1, 24
	v_mul_lo_u32 v0, v0, 24
	s_delay_alu instid0(VALU_DEP_2) | instskip(SKIP_1) | instid1(VALU_DEP_2)
	v_add_nc_u32_e32 v1, v8, v1
	s_waitcnt vmcnt(0)
	v_add_co_u32 v0, vcc_lo, v4, v0
	s_delay_alu instid0(VALU_DEP_2)
	v_add_co_ci_u32_e32 v1, vcc_lo, v5, v1, vcc_lo
	global_load_b64 v[4:5], v[0:1], off glc
	s_waitcnt vmcnt(0)
	global_atomic_cmpswap_b64 v[0:1], v3, v[4:7], s[4:5] offset:24 glc
	s_waitcnt vmcnt(0)
	buffer_gl1_inv
	buffer_gl0_inv
	v_cmpx_ne_u64_e64 v[0:1], v[6:7]
	s_cbranch_execz .LBB4_6
; %bb.3:
	s_mov_b32 s7, 0
	.p2align	6
.LBB4_4:                                ; =>This Inner Loop Header: Depth=1
	s_sleep 1
	s_clause 0x1
	global_load_b64 v[4:5], v3, s[4:5] offset:40
	global_load_b64 v[8:9], v3, s[4:5]
	v_dual_mov_b32 v7, v1 :: v_dual_mov_b32 v6, v0
	s_waitcnt vmcnt(1)
	s_delay_alu instid0(VALU_DEP_1) | instskip(SKIP_1) | instid1(VALU_DEP_1)
	v_and_b32_e32 v4, v4, v6
	s_waitcnt vmcnt(0)
	v_mad_u64_u32 v[0:1], null, v4, 24, v[8:9]
	v_and_b32_e32 v8, v5, v7
	s_delay_alu instid0(VALU_DEP_1) | instskip(NEXT) | instid1(VALU_DEP_1)
	v_mad_u64_u32 v[4:5], null, v8, 24, v[1:2]
	v_mov_b32_e32 v1, v4
	global_load_b64 v[4:5], v[0:1], off glc
	s_waitcnt vmcnt(0)
	global_atomic_cmpswap_b64 v[0:1], v3, v[4:7], s[4:5] offset:24 glc
	s_waitcnt vmcnt(0)
	buffer_gl1_inv
	buffer_gl0_inv
	v_cmp_eq_u64_e32 vcc_lo, v[0:1], v[6:7]
	s_or_b32 s7, vcc_lo, s7
	s_delay_alu instid0(SALU_CYCLE_1)
	s_and_not1_b32 exec_lo, exec_lo, s7
	s_cbranch_execnz .LBB4_4
; %bb.5:
	s_or_b32 exec_lo, exec_lo, s7
.LBB4_6:
	s_delay_alu instid0(SALU_CYCLE_1)
	s_or_b32 exec_lo, exec_lo, s6
.LBB4_7:
	s_delay_alu instid0(SALU_CYCLE_1)
	s_or_b32 exec_lo, exec_lo, s3
	v_mov_b32_e32 v8, 0
	v_readfirstlane_b32 s6, v0
	v_readfirstlane_b32 s7, v1
	s_mov_b32 s3, exec_lo
	s_waitcnt lgkmcnt(0)
	s_clause 0x1
	global_load_b64 v[9:10], v8, s[4:5] offset:40
	global_load_b128 v[3:6], v8, s[4:5]
	s_waitcnt vmcnt(1)
	v_readfirstlane_b32 s8, v9
	v_readfirstlane_b32 s9, v10
	s_delay_alu instid0(VALU_DEP_1) | instskip(NEXT) | instid1(SALU_CYCLE_1)
	s_and_b64 s[8:9], s[6:7], s[8:9]
	s_mul_i32 s10, s9, 24
	s_mul_hi_u32 s11, s8, 24
	s_mul_i32 s12, s8, 24
	s_add_i32 s11, s11, s10
	s_waitcnt vmcnt(0)
	v_add_co_u32 v0, vcc_lo, v3, s12
	v_add_co_ci_u32_e32 v1, vcc_lo, s11, v4, vcc_lo
	s_and_saveexec_b32 s10, s2
	s_cbranch_execz .LBB4_9
; %bb.8:
	v_dual_mov_b32 v7, s3 :: v_dual_mov_b32 v10, 1
	v_mov_b32_e32 v9, 2
	global_store_b128 v[0:1], v[7:10], off offset:8
.LBB4_9:
	s_or_b32 exec_lo, exec_lo, s10
	s_lshl_b64 s[8:9], s[8:9], 12
	v_dual_mov_b32 v10, v8 :: v_dual_lshlrev_b32 v29, 6, v30
	v_add_co_u32 v5, vcc_lo, v5, s8
	v_add_co_ci_u32_e32 v6, vcc_lo, s9, v6, vcc_lo
	s_mov_b32 s8, 0
	s_delay_alu instid0(VALU_DEP_2)
	v_add_co_u32 v11, vcc_lo, v5, v29
	s_mov_b32 s11, s8
	s_mov_b32 s9, s8
	s_mov_b32 s10, s8
	v_dual_mov_b32 v7, 33 :: v_dual_mov_b32 v16, s11
	v_dual_mov_b32 v9, v8 :: v_dual_mov_b32 v14, s9
	v_readfirstlane_b32 s12, v5
	v_readfirstlane_b32 s13, v6
	v_add_co_ci_u32_e32 v12, vcc_lo, 0, v6, vcc_lo
	v_mov_b32_e32 v15, s10
	v_mov_b32_e32 v13, s8
	s_clause 0x3
	global_store_b128 v29, v[7:10], s[12:13]
	global_store_b128 v29, v[13:16], s[12:13] offset:16
	global_store_b128 v29, v[13:16], s[12:13] offset:32
	;; [unrolled: 1-line block ×3, first 2 shown]
	s_and_saveexec_b32 s3, s2
	s_cbranch_execz .LBB4_17
; %bb.10:
	v_mov_b32_e32 v9, 0
	s_mov_b32 s8, exec_lo
	s_clause 0x1
	global_load_b64 v[15:16], v9, s[4:5] offset:32 glc
	global_load_b64 v[5:6], v9, s[4:5] offset:40
	v_dual_mov_b32 v14, s7 :: v_dual_mov_b32 v13, s6
	s_waitcnt vmcnt(0)
	v_and_b32_e32 v6, s7, v6
	v_and_b32_e32 v5, s6, v5
	s_delay_alu instid0(VALU_DEP_2) | instskip(NEXT) | instid1(VALU_DEP_2)
	v_mul_lo_u32 v6, v6, 24
	v_mul_hi_u32 v7, v5, 24
	v_mul_lo_u32 v5, v5, 24
	s_delay_alu instid0(VALU_DEP_2) | instskip(NEXT) | instid1(VALU_DEP_2)
	v_add_nc_u32_e32 v6, v7, v6
	v_add_co_u32 v7, vcc_lo, v3, v5
	s_delay_alu instid0(VALU_DEP_2)
	v_add_co_ci_u32_e32 v8, vcc_lo, v4, v6, vcc_lo
	global_store_b64 v[7:8], v[15:16], off
	s_waitcnt_vscnt null, 0x0
	global_atomic_cmpswap_b64 v[5:6], v9, v[13:16], s[4:5] offset:32 glc
	s_waitcnt vmcnt(0)
	v_cmpx_ne_u64_e64 v[5:6], v[15:16]
	s_cbranch_execz .LBB4_13
; %bb.11:
	s_mov_b32 s9, 0
.LBB4_12:                               ; =>This Inner Loop Header: Depth=1
	v_dual_mov_b32 v3, s6 :: v_dual_mov_b32 v4, s7
	s_sleep 1
	global_store_b64 v[7:8], v[5:6], off
	s_waitcnt_vscnt null, 0x0
	global_atomic_cmpswap_b64 v[3:4], v9, v[3:6], s[4:5] offset:32 glc
	s_waitcnt vmcnt(0)
	v_cmp_eq_u64_e32 vcc_lo, v[3:4], v[5:6]
	v_dual_mov_b32 v6, v4 :: v_dual_mov_b32 v5, v3
	s_or_b32 s9, vcc_lo, s9
	s_delay_alu instid0(SALU_CYCLE_1)
	s_and_not1_b32 exec_lo, exec_lo, s9
	s_cbranch_execnz .LBB4_12
.LBB4_13:
	s_or_b32 exec_lo, exec_lo, s8
	v_mov_b32_e32 v6, 0
	s_mov_b32 s9, exec_lo
	s_mov_b32 s8, exec_lo
	v_mbcnt_lo_u32_b32 v5, s9, 0
	global_load_b64 v[3:4], v6, s[4:5] offset:16
	v_cmpx_eq_u32_e32 0, v5
	s_cbranch_execz .LBB4_15
; %bb.14:
	s_bcnt1_i32_b32 s9, s9
	s_delay_alu instid0(SALU_CYCLE_1)
	v_mov_b32_e32 v5, s9
	s_waitcnt vmcnt(0)
	global_atomic_add_u64 v[3:4], v[5:6], off offset:8
.LBB4_15:
	s_or_b32 exec_lo, exec_lo, s8
	s_waitcnt vmcnt(0)
	global_load_b64 v[5:6], v[3:4], off offset:16
	s_waitcnt vmcnt(0)
	v_cmp_eq_u64_e32 vcc_lo, 0, v[5:6]
	s_cbranch_vccnz .LBB4_17
; %bb.16:
	global_load_b32 v3, v[3:4], off offset:24
	s_waitcnt vmcnt(0)
	v_dual_mov_b32 v4, 0 :: v_dual_and_b32 v7, 0xffffff, v3
	s_waitcnt_vscnt null, 0x0
	global_store_b64 v[5:6], v[3:4], off
	v_readfirstlane_b32 m0, v7
	s_sendmsg sendmsg(MSG_INTERRUPT)
.LBB4_17:
	s_or_b32 exec_lo, exec_lo, s3
	s_branch .LBB4_21
	.p2align	6
.LBB4_18:                               ;   in Loop: Header=BB4_21 Depth=1
	s_or_b32 exec_lo, exec_lo, s3
	s_delay_alu instid0(VALU_DEP_1) | instskip(NEXT) | instid1(VALU_DEP_1)
	v_readfirstlane_b32 s3, v3
	s_cmp_eq_u32 s3, 0
	s_cbranch_scc1 .LBB4_20
; %bb.19:                               ;   in Loop: Header=BB4_21 Depth=1
	s_sleep 1
	s_cbranch_execnz .LBB4_21
	s_branch .LBB4_23
	.p2align	6
.LBB4_20:
	s_branch .LBB4_23
.LBB4_21:                               ; =>This Inner Loop Header: Depth=1
	v_mov_b32_e32 v3, 1
	s_and_saveexec_b32 s3, s2
	s_cbranch_execz .LBB4_18
; %bb.22:                               ;   in Loop: Header=BB4_21 Depth=1
	global_load_b32 v3, v[0:1], off offset:20 glc
	s_waitcnt vmcnt(0)
	buffer_gl1_inv
	buffer_gl0_inv
	v_and_b32_e32 v3, 1, v3
	s_branch .LBB4_18
.LBB4_23:
	global_load_b64 v[3:4], v[11:12], off
	s_and_saveexec_b32 s3, s2
	s_cbranch_execz .LBB4_27
; %bb.24:
	v_mov_b32_e32 v9, 0
	s_clause 0x2
	global_load_b64 v[0:1], v9, s[4:5] offset:40
	global_load_b64 v[10:11], v9, s[4:5] offset:24 glc
	global_load_b64 v[7:8], v9, s[4:5]
	s_waitcnt vmcnt(2)
	v_add_co_u32 v12, vcc_lo, v0, 1
	v_add_co_ci_u32_e32 v13, vcc_lo, 0, v1, vcc_lo
	s_delay_alu instid0(VALU_DEP_2) | instskip(NEXT) | instid1(VALU_DEP_2)
	v_add_co_u32 v5, vcc_lo, v12, s6
	v_add_co_ci_u32_e32 v6, vcc_lo, s7, v13, vcc_lo
	s_delay_alu instid0(VALU_DEP_1) | instskip(SKIP_1) | instid1(VALU_DEP_1)
	v_cmp_eq_u64_e32 vcc_lo, 0, v[5:6]
	v_dual_cndmask_b32 v6, v6, v13 :: v_dual_cndmask_b32 v5, v5, v12
	v_and_b32_e32 v1, v6, v1
	s_delay_alu instid0(VALU_DEP_2) | instskip(NEXT) | instid1(VALU_DEP_2)
	v_and_b32_e32 v0, v5, v0
	v_mul_lo_u32 v1, v1, 24
	s_delay_alu instid0(VALU_DEP_2) | instskip(SKIP_1) | instid1(VALU_DEP_2)
	v_mul_hi_u32 v12, v0, 24
	v_mul_lo_u32 v0, v0, 24
	v_add_nc_u32_e32 v1, v12, v1
	s_waitcnt vmcnt(0)
	s_delay_alu instid0(VALU_DEP_2) | instskip(SKIP_1) | instid1(VALU_DEP_3)
	v_add_co_u32 v0, vcc_lo, v7, v0
	v_mov_b32_e32 v7, v10
	v_add_co_ci_u32_e32 v1, vcc_lo, v8, v1, vcc_lo
	v_mov_b32_e32 v8, v11
	global_store_b64 v[0:1], v[10:11], off
	s_waitcnt_vscnt null, 0x0
	global_atomic_cmpswap_b64 v[7:8], v9, v[5:8], s[4:5] offset:24 glc
	s_waitcnt vmcnt(0)
	v_cmp_ne_u64_e32 vcc_lo, v[7:8], v[10:11]
	s_and_b32 exec_lo, exec_lo, vcc_lo
	s_cbranch_execz .LBB4_27
; %bb.25:
	s_mov_b32 s2, 0
.LBB4_26:                               ; =>This Inner Loop Header: Depth=1
	s_sleep 1
	global_store_b64 v[0:1], v[7:8], off
	s_waitcnt_vscnt null, 0x0
	global_atomic_cmpswap_b64 v[10:11], v9, v[5:8], s[4:5] offset:24 glc
	s_waitcnt vmcnt(0)
	v_cmp_eq_u64_e32 vcc_lo, v[10:11], v[7:8]
	v_dual_mov_b32 v7, v10 :: v_dual_mov_b32 v8, v11
	s_or_b32 s2, vcc_lo, s2
	s_delay_alu instid0(SALU_CYCLE_1)
	s_and_not1_b32 exec_lo, exec_lo, s2
	s_cbranch_execnz .LBB4_26
.LBB4_27:
	s_or_b32 exec_lo, exec_lo, s3
	s_getpc_b64 s[6:7]
	s_add_u32 s6, s6, .str.3@rel32@lo+4
	s_addc_u32 s7, s7, .str.3@rel32@hi+12
	s_delay_alu instid0(SALU_CYCLE_1)
	s_cmp_lg_u64 s[6:7], 0
	s_cbranch_scc0 .LBB4_106
; %bb.28:
	s_waitcnt vmcnt(0)
	v_dual_mov_b32 v10, v4 :: v_dual_and_b32 v9, -3, v3
	v_dual_mov_b32 v6, 0 :: v_dual_mov_b32 v7, 2
	v_mov_b32_e32 v8, 1
	s_mov_b64 s[8:9], 0x50
	s_branch .LBB4_30
.LBB4_29:                               ;   in Loop: Header=BB4_30 Depth=1
	s_or_b32 exec_lo, exec_lo, s3
	s_sub_u32 s8, s8, s10
	s_subb_u32 s9, s9, s11
	s_add_u32 s6, s6, s10
	s_addc_u32 s7, s7, s11
	s_cmp_lg_u64 s[8:9], 0
	s_cbranch_scc0 .LBB4_105
.LBB4_30:                               ; =>This Loop Header: Depth=1
                                        ;     Child Loop BB4_39 Depth 2
                                        ;     Child Loop BB4_35 Depth 2
	;; [unrolled: 1-line block ×11, first 2 shown]
	v_cmp_lt_u64_e64 s2, s[8:9], 56
	v_cmp_gt_u64_e64 s3, s[8:9], 7
                                        ; implicit-def: $sgpr17
	s_delay_alu instid0(VALU_DEP_2) | instskip(SKIP_2) | instid1(VALU_DEP_1)
	s_and_b32 s2, s2, exec_lo
	s_cselect_b32 s11, s9, 0
	s_cselect_b32 s10, s8, 56
	s_and_b32 vcc_lo, exec_lo, s3
	s_mov_b32 s2, -1
	s_cbranch_vccz .LBB4_37
; %bb.31:                               ;   in Loop: Header=BB4_30 Depth=1
	s_and_not1_b32 vcc_lo, exec_lo, s2
	s_mov_b64 s[2:3], s[6:7]
	s_cbranch_vccz .LBB4_41
.LBB4_32:                               ;   in Loop: Header=BB4_30 Depth=1
	s_cmp_gt_u32 s17, 7
	s_cbranch_scc1 .LBB4_42
.LBB4_33:                               ;   in Loop: Header=BB4_30 Depth=1
	v_mov_b32_e32 v13, 0
	v_mov_b32_e32 v14, 0
	s_cmp_eq_u32 s17, 0
	s_cbranch_scc1 .LBB4_36
; %bb.34:                               ;   in Loop: Header=BB4_30 Depth=1
	s_mov_b64 s[12:13], 0
	s_mov_b64 s[14:15], 0
.LBB4_35:                               ;   Parent Loop BB4_30 Depth=1
                                        ; =>  This Inner Loop Header: Depth=2
	s_delay_alu instid0(SALU_CYCLE_1)
	s_add_u32 s18, s2, s14
	s_addc_u32 s19, s3, s15
	s_add_u32 s14, s14, 1
	global_load_u8 v0, v6, s[18:19]
	s_addc_u32 s15, s15, 0
	s_waitcnt vmcnt(0)
	v_and_b32_e32 v5, 0xffff, v0
	s_delay_alu instid0(VALU_DEP_1) | instskip(SKIP_3) | instid1(VALU_DEP_1)
	v_lshlrev_b64 v[0:1], s12, v[5:6]
	s_add_u32 s12, s12, 8
	s_addc_u32 s13, s13, 0
	s_cmp_lg_u32 s17, s14
	v_or_b32_e32 v13, v0, v13
	s_delay_alu instid0(VALU_DEP_2)
	v_or_b32_e32 v14, v1, v14
	s_cbranch_scc1 .LBB4_35
.LBB4_36:                               ;   in Loop: Header=BB4_30 Depth=1
	s_mov_b32 s18, 0
	s_cbranch_execz .LBB4_43
	s_branch .LBB4_44
.LBB4_37:                               ;   in Loop: Header=BB4_30 Depth=1
	s_waitcnt vmcnt(0)
	v_mov_b32_e32 v11, 0
	v_mov_b32_e32 v12, 0
	s_cmp_eq_u64 s[8:9], 0
	s_mov_b64 s[2:3], 0
	s_cbranch_scc1 .LBB4_40
; %bb.38:                               ;   in Loop: Header=BB4_30 Depth=1
	v_mov_b32_e32 v11, 0
	v_mov_b32_e32 v12, 0
	s_lshl_b64 s[12:13], s[10:11], 3
	s_mov_b64 s[14:15], s[6:7]
.LBB4_39:                               ;   Parent Loop BB4_30 Depth=1
                                        ; =>  This Inner Loop Header: Depth=2
	global_load_u8 v0, v6, s[14:15]
	s_waitcnt vmcnt(0)
	v_and_b32_e32 v5, 0xffff, v0
	s_delay_alu instid0(VALU_DEP_1)
	v_lshlrev_b64 v[0:1], s2, v[5:6]
	s_add_u32 s2, s2, 8
	s_addc_u32 s3, s3, 0
	s_add_u32 s14, s14, 1
	s_addc_u32 s15, s15, 0
	s_cmp_lg_u32 s12, s2
	v_or_b32_e32 v11, v0, v11
	v_or_b32_e32 v12, v1, v12
	s_cbranch_scc1 .LBB4_39
.LBB4_40:                               ;   in Loop: Header=BB4_30 Depth=1
	s_mov_b32 s17, 0
	s_mov_b64 s[2:3], s[6:7]
	s_cbranch_execnz .LBB4_32
.LBB4_41:                               ;   in Loop: Header=BB4_30 Depth=1
	global_load_b64 v[11:12], v6, s[6:7]
	s_add_i32 s17, s10, -8
	s_add_u32 s2, s6, 8
	s_addc_u32 s3, s7, 0
	s_cmp_gt_u32 s17, 7
	s_cbranch_scc0 .LBB4_33
.LBB4_42:                               ;   in Loop: Header=BB4_30 Depth=1
                                        ; implicit-def: $vgpr13_vgpr14
                                        ; implicit-def: $sgpr18
.LBB4_43:                               ;   in Loop: Header=BB4_30 Depth=1
	global_load_b64 v[13:14], v6, s[2:3]
	s_add_i32 s18, s17, -8
	s_add_u32 s2, s2, 8
	s_addc_u32 s3, s3, 0
.LBB4_44:                               ;   in Loop: Header=BB4_30 Depth=1
	s_cmp_gt_u32 s18, 7
	s_cbranch_scc1 .LBB4_49
; %bb.45:                               ;   in Loop: Header=BB4_30 Depth=1
	v_mov_b32_e32 v15, 0
	v_mov_b32_e32 v16, 0
	s_cmp_eq_u32 s18, 0
	s_cbranch_scc1 .LBB4_48
; %bb.46:                               ;   in Loop: Header=BB4_30 Depth=1
	s_mov_b64 s[12:13], 0
	s_mov_b64 s[14:15], 0
.LBB4_47:                               ;   Parent Loop BB4_30 Depth=1
                                        ; =>  This Inner Loop Header: Depth=2
	s_delay_alu instid0(SALU_CYCLE_1)
	s_add_u32 s20, s2, s14
	s_addc_u32 s21, s3, s15
	s_add_u32 s14, s14, 1
	global_load_u8 v0, v6, s[20:21]
	s_addc_u32 s15, s15, 0
	s_waitcnt vmcnt(0)
	v_and_b32_e32 v5, 0xffff, v0
	s_delay_alu instid0(VALU_DEP_1) | instskip(SKIP_3) | instid1(VALU_DEP_1)
	v_lshlrev_b64 v[0:1], s12, v[5:6]
	s_add_u32 s12, s12, 8
	s_addc_u32 s13, s13, 0
	s_cmp_lg_u32 s18, s14
	v_or_b32_e32 v15, v0, v15
	s_delay_alu instid0(VALU_DEP_2)
	v_or_b32_e32 v16, v1, v16
	s_cbranch_scc1 .LBB4_47
.LBB4_48:                               ;   in Loop: Header=BB4_30 Depth=1
	s_mov_b32 s17, 0
	s_cbranch_execz .LBB4_50
	s_branch .LBB4_51
.LBB4_49:                               ;   in Loop: Header=BB4_30 Depth=1
                                        ; implicit-def: $sgpr17
.LBB4_50:                               ;   in Loop: Header=BB4_30 Depth=1
	global_load_b64 v[15:16], v6, s[2:3]
	s_add_i32 s17, s18, -8
	s_add_u32 s2, s2, 8
	s_addc_u32 s3, s3, 0
.LBB4_51:                               ;   in Loop: Header=BB4_30 Depth=1
	s_cmp_gt_u32 s17, 7
	s_cbranch_scc1 .LBB4_56
; %bb.52:                               ;   in Loop: Header=BB4_30 Depth=1
	v_mov_b32_e32 v17, 0
	v_mov_b32_e32 v18, 0
	s_cmp_eq_u32 s17, 0
	s_cbranch_scc1 .LBB4_55
; %bb.53:                               ;   in Loop: Header=BB4_30 Depth=1
	s_mov_b64 s[12:13], 0
	s_mov_b64 s[14:15], 0
.LBB4_54:                               ;   Parent Loop BB4_30 Depth=1
                                        ; =>  This Inner Loop Header: Depth=2
	s_delay_alu instid0(SALU_CYCLE_1)
	s_add_u32 s18, s2, s14
	s_addc_u32 s19, s3, s15
	s_add_u32 s14, s14, 1
	global_load_u8 v0, v6, s[18:19]
	s_addc_u32 s15, s15, 0
	s_waitcnt vmcnt(0)
	v_and_b32_e32 v5, 0xffff, v0
	s_delay_alu instid0(VALU_DEP_1) | instskip(SKIP_3) | instid1(VALU_DEP_1)
	v_lshlrev_b64 v[0:1], s12, v[5:6]
	s_add_u32 s12, s12, 8
	s_addc_u32 s13, s13, 0
	s_cmp_lg_u32 s17, s14
	v_or_b32_e32 v17, v0, v17
	s_delay_alu instid0(VALU_DEP_2)
	v_or_b32_e32 v18, v1, v18
	s_cbranch_scc1 .LBB4_54
.LBB4_55:                               ;   in Loop: Header=BB4_30 Depth=1
	s_mov_b32 s18, 0
	s_cbranch_execz .LBB4_57
	s_branch .LBB4_58
.LBB4_56:                               ;   in Loop: Header=BB4_30 Depth=1
                                        ; implicit-def: $vgpr17_vgpr18
                                        ; implicit-def: $sgpr18
.LBB4_57:                               ;   in Loop: Header=BB4_30 Depth=1
	global_load_b64 v[17:18], v6, s[2:3]
	s_add_i32 s18, s17, -8
	s_add_u32 s2, s2, 8
	s_addc_u32 s3, s3, 0
.LBB4_58:                               ;   in Loop: Header=BB4_30 Depth=1
	s_cmp_gt_u32 s18, 7
	s_cbranch_scc1 .LBB4_63
; %bb.59:                               ;   in Loop: Header=BB4_30 Depth=1
	v_mov_b32_e32 v19, 0
	v_mov_b32_e32 v20, 0
	s_cmp_eq_u32 s18, 0
	s_cbranch_scc1 .LBB4_62
; %bb.60:                               ;   in Loop: Header=BB4_30 Depth=1
	s_mov_b64 s[12:13], 0
	s_mov_b64 s[14:15], 0
.LBB4_61:                               ;   Parent Loop BB4_30 Depth=1
                                        ; =>  This Inner Loop Header: Depth=2
	s_delay_alu instid0(SALU_CYCLE_1)
	s_add_u32 s20, s2, s14
	s_addc_u32 s21, s3, s15
	s_add_u32 s14, s14, 1
	global_load_u8 v0, v6, s[20:21]
	s_addc_u32 s15, s15, 0
	s_waitcnt vmcnt(0)
	v_and_b32_e32 v5, 0xffff, v0
	s_delay_alu instid0(VALU_DEP_1) | instskip(SKIP_3) | instid1(VALU_DEP_1)
	v_lshlrev_b64 v[0:1], s12, v[5:6]
	s_add_u32 s12, s12, 8
	s_addc_u32 s13, s13, 0
	s_cmp_lg_u32 s18, s14
	v_or_b32_e32 v19, v0, v19
	s_delay_alu instid0(VALU_DEP_2)
	v_or_b32_e32 v20, v1, v20
	s_cbranch_scc1 .LBB4_61
.LBB4_62:                               ;   in Loop: Header=BB4_30 Depth=1
	s_mov_b32 s17, 0
	s_cbranch_execz .LBB4_64
	s_branch .LBB4_65
.LBB4_63:                               ;   in Loop: Header=BB4_30 Depth=1
                                        ; implicit-def: $sgpr17
.LBB4_64:                               ;   in Loop: Header=BB4_30 Depth=1
	global_load_b64 v[19:20], v6, s[2:3]
	s_add_i32 s17, s18, -8
	s_add_u32 s2, s2, 8
	s_addc_u32 s3, s3, 0
.LBB4_65:                               ;   in Loop: Header=BB4_30 Depth=1
	s_cmp_gt_u32 s17, 7
	s_cbranch_scc1 .LBB4_70
; %bb.66:                               ;   in Loop: Header=BB4_30 Depth=1
	v_mov_b32_e32 v21, 0
	v_mov_b32_e32 v22, 0
	s_cmp_eq_u32 s17, 0
	s_cbranch_scc1 .LBB4_69
; %bb.67:                               ;   in Loop: Header=BB4_30 Depth=1
	s_mov_b64 s[12:13], 0
	s_mov_b64 s[14:15], 0
.LBB4_68:                               ;   Parent Loop BB4_30 Depth=1
                                        ; =>  This Inner Loop Header: Depth=2
	s_delay_alu instid0(SALU_CYCLE_1)
	s_add_u32 s18, s2, s14
	s_addc_u32 s19, s3, s15
	s_add_u32 s14, s14, 1
	global_load_u8 v0, v6, s[18:19]
	s_addc_u32 s15, s15, 0
	s_waitcnt vmcnt(0)
	v_and_b32_e32 v5, 0xffff, v0
	s_delay_alu instid0(VALU_DEP_1) | instskip(SKIP_3) | instid1(VALU_DEP_1)
	v_lshlrev_b64 v[0:1], s12, v[5:6]
	s_add_u32 s12, s12, 8
	s_addc_u32 s13, s13, 0
	s_cmp_lg_u32 s17, s14
	v_or_b32_e32 v21, v0, v21
	s_delay_alu instid0(VALU_DEP_2)
	v_or_b32_e32 v22, v1, v22
	s_cbranch_scc1 .LBB4_68
.LBB4_69:                               ;   in Loop: Header=BB4_30 Depth=1
	s_mov_b32 s18, 0
	s_cbranch_execz .LBB4_71
	s_branch .LBB4_72
.LBB4_70:                               ;   in Loop: Header=BB4_30 Depth=1
                                        ; implicit-def: $vgpr21_vgpr22
                                        ; implicit-def: $sgpr18
.LBB4_71:                               ;   in Loop: Header=BB4_30 Depth=1
	global_load_b64 v[21:22], v6, s[2:3]
	s_add_i32 s18, s17, -8
	s_add_u32 s2, s2, 8
	s_addc_u32 s3, s3, 0
.LBB4_72:                               ;   in Loop: Header=BB4_30 Depth=1
	s_cmp_gt_u32 s18, 7
	s_cbranch_scc1 .LBB4_77
; %bb.73:                               ;   in Loop: Header=BB4_30 Depth=1
	v_mov_b32_e32 v23, 0
	v_mov_b32_e32 v24, 0
	s_cmp_eq_u32 s18, 0
	s_cbranch_scc1 .LBB4_76
; %bb.74:                               ;   in Loop: Header=BB4_30 Depth=1
	s_mov_b64 s[12:13], 0
	s_mov_b64 s[14:15], s[2:3]
.LBB4_75:                               ;   Parent Loop BB4_30 Depth=1
                                        ; =>  This Inner Loop Header: Depth=2
	global_load_u8 v0, v6, s[14:15]
	s_add_i32 s18, s18, -1
	s_waitcnt vmcnt(0)
	v_and_b32_e32 v5, 0xffff, v0
	s_delay_alu instid0(VALU_DEP_1)
	v_lshlrev_b64 v[0:1], s12, v[5:6]
	s_add_u32 s12, s12, 8
	s_addc_u32 s13, s13, 0
	s_add_u32 s14, s14, 1
	s_addc_u32 s15, s15, 0
	s_cmp_lg_u32 s18, 0
	v_or_b32_e32 v23, v0, v23
	v_or_b32_e32 v24, v1, v24
	s_cbranch_scc1 .LBB4_75
.LBB4_76:                               ;   in Loop: Header=BB4_30 Depth=1
	s_cbranch_execz .LBB4_78
	s_branch .LBB4_79
.LBB4_77:                               ;   in Loop: Header=BB4_30 Depth=1
.LBB4_78:                               ;   in Loop: Header=BB4_30 Depth=1
	global_load_b64 v[23:24], v6, s[2:3]
.LBB4_79:                               ;   in Loop: Header=BB4_30 Depth=1
	v_readfirstlane_b32 s2, v30
	v_mov_b32_e32 v0, 0
	v_mov_b32_e32 v1, 0
	s_delay_alu instid0(VALU_DEP_3) | instskip(NEXT) | instid1(VALU_DEP_1)
	v_cmp_eq_u32_e64 s2, s2, v30
	s_and_saveexec_b32 s3, s2
	s_cbranch_execz .LBB4_85
; %bb.80:                               ;   in Loop: Header=BB4_30 Depth=1
	global_load_b64 v[27:28], v6, s[4:5] offset:24 glc
	s_waitcnt vmcnt(0)
	buffer_gl1_inv
	buffer_gl0_inv
	s_clause 0x1
	global_load_b64 v[0:1], v6, s[4:5] offset:40
	global_load_b64 v[25:26], v6, s[4:5]
	s_mov_b32 s12, exec_lo
	s_waitcnt vmcnt(1)
	v_and_b32_e32 v1, v1, v28
	v_and_b32_e32 v0, v0, v27
	s_delay_alu instid0(VALU_DEP_2) | instskip(NEXT) | instid1(VALU_DEP_2)
	v_mul_lo_u32 v1, v1, 24
	v_mul_hi_u32 v5, v0, 24
	v_mul_lo_u32 v0, v0, 24
	s_delay_alu instid0(VALU_DEP_2) | instskip(SKIP_1) | instid1(VALU_DEP_2)
	v_add_nc_u32_e32 v1, v5, v1
	s_waitcnt vmcnt(0)
	v_add_co_u32 v0, vcc_lo, v25, v0
	s_delay_alu instid0(VALU_DEP_2)
	v_add_co_ci_u32_e32 v1, vcc_lo, v26, v1, vcc_lo
	global_load_b64 v[25:26], v[0:1], off glc
	s_waitcnt vmcnt(0)
	global_atomic_cmpswap_b64 v[0:1], v6, v[25:28], s[4:5] offset:24 glc
	s_waitcnt vmcnt(0)
	buffer_gl1_inv
	buffer_gl0_inv
	v_cmpx_ne_u64_e64 v[0:1], v[27:28]
	s_cbranch_execz .LBB4_84
; %bb.81:                               ;   in Loop: Header=BB4_30 Depth=1
	s_mov_b32 s13, 0
	.p2align	6
.LBB4_82:                               ;   Parent Loop BB4_30 Depth=1
                                        ; =>  This Inner Loop Header: Depth=2
	s_sleep 1
	s_clause 0x1
	global_load_b64 v[25:26], v6, s[4:5] offset:40
	global_load_b64 v[31:32], v6, s[4:5]
	v_dual_mov_b32 v28, v1 :: v_dual_mov_b32 v27, v0
	s_waitcnt vmcnt(1)
	s_delay_alu instid0(VALU_DEP_1) | instskip(SKIP_1) | instid1(VALU_DEP_1)
	v_and_b32_e32 v5, v25, v27
	s_waitcnt vmcnt(0)
	v_mad_u64_u32 v[0:1], null, v5, 24, v[31:32]
	v_and_b32_e32 v5, v26, v28
	s_delay_alu instid0(VALU_DEP_1) | instskip(NEXT) | instid1(VALU_DEP_1)
	v_mad_u64_u32 v[25:26], null, v5, 24, v[1:2]
	v_mov_b32_e32 v1, v25
	global_load_b64 v[25:26], v[0:1], off glc
	s_waitcnt vmcnt(0)
	global_atomic_cmpswap_b64 v[0:1], v6, v[25:28], s[4:5] offset:24 glc
	s_waitcnt vmcnt(0)
	buffer_gl1_inv
	buffer_gl0_inv
	v_cmp_eq_u64_e32 vcc_lo, v[0:1], v[27:28]
	s_or_b32 s13, vcc_lo, s13
	s_delay_alu instid0(SALU_CYCLE_1)
	s_and_not1_b32 exec_lo, exec_lo, s13
	s_cbranch_execnz .LBB4_82
; %bb.83:                               ;   in Loop: Header=BB4_30 Depth=1
	s_or_b32 exec_lo, exec_lo, s13
.LBB4_84:                               ;   in Loop: Header=BB4_30 Depth=1
	s_delay_alu instid0(SALU_CYCLE_1)
	s_or_b32 exec_lo, exec_lo, s12
.LBB4_85:                               ;   in Loop: Header=BB4_30 Depth=1
	s_delay_alu instid0(SALU_CYCLE_1)
	s_or_b32 exec_lo, exec_lo, s3
	s_clause 0x1
	global_load_b64 v[31:32], v6, s[4:5] offset:40
	global_load_b128 v[25:28], v6, s[4:5]
	v_readfirstlane_b32 s12, v0
	v_readfirstlane_b32 s13, v1
	s_mov_b32 s3, exec_lo
	s_waitcnt vmcnt(1)
	v_readfirstlane_b32 s14, v31
	v_readfirstlane_b32 s15, v32
	s_delay_alu instid0(VALU_DEP_1) | instskip(NEXT) | instid1(SALU_CYCLE_1)
	s_and_b64 s[14:15], s[12:13], s[14:15]
	s_mul_i32 s17, s15, 24
	s_mul_hi_u32 s18, s14, 24
	s_mul_i32 s19, s14, 24
	s_add_i32 s18, s18, s17
	s_waitcnt vmcnt(0)
	v_add_co_u32 v0, vcc_lo, v25, s19
	v_add_co_ci_u32_e32 v1, vcc_lo, s18, v26, vcc_lo
	s_and_saveexec_b32 s17, s2
	s_cbranch_execz .LBB4_87
; %bb.86:                               ;   in Loop: Header=BB4_30 Depth=1
	v_mov_b32_e32 v5, s3
	global_store_b128 v[0:1], v[5:8], off offset:8
.LBB4_87:                               ;   in Loop: Header=BB4_30 Depth=1
	s_or_b32 exec_lo, exec_lo, s17
	s_lshl_b64 s[14:15], s[14:15], 12
	v_or_b32_e32 v5, 2, v9
	v_add_co_u32 v27, vcc_lo, v27, s14
	v_add_co_ci_u32_e32 v28, vcc_lo, s15, v28, vcc_lo
	v_cmp_gt_u64_e64 vcc_lo, s[8:9], 56
	s_lshl_b32 s3, s10, 2
	s_delay_alu instid0(VALU_DEP_3) | instskip(SKIP_4) | instid1(VALU_DEP_1)
	v_readfirstlane_b32 s14, v27
	s_add_i32 s3, s3, 28
	v_readfirstlane_b32 s15, v28
	s_and_b32 s3, s3, 0x1e0
	v_cndmask_b32_e32 v5, v5, v9, vcc_lo
	v_and_or_b32 v9, 0xffffff1f, v5, s3
	s_clause 0x3
	global_store_b128 v29, v[9:12], s[14:15]
	global_store_b128 v29, v[13:16], s[14:15] offset:16
	global_store_b128 v29, v[17:20], s[14:15] offset:32
	;; [unrolled: 1-line block ×3, first 2 shown]
	s_and_saveexec_b32 s3, s2
	s_cbranch_execz .LBB4_95
; %bb.88:                               ;   in Loop: Header=BB4_30 Depth=1
	s_clause 0x1
	global_load_b64 v[17:18], v6, s[4:5] offset:32 glc
	global_load_b64 v[9:10], v6, s[4:5] offset:40
	v_dual_mov_b32 v15, s12 :: v_dual_mov_b32 v16, s13
	s_waitcnt vmcnt(0)
	v_readfirstlane_b32 s14, v9
	v_readfirstlane_b32 s15, v10
	s_delay_alu instid0(VALU_DEP_1) | instskip(NEXT) | instid1(SALU_CYCLE_1)
	s_and_b64 s[14:15], s[14:15], s[12:13]
	s_mul_i32 s15, s15, 24
	s_mul_hi_u32 s17, s14, 24
	s_mul_i32 s14, s14, 24
	s_add_i32 s17, s17, s15
	v_add_co_u32 v13, vcc_lo, v25, s14
	v_add_co_ci_u32_e32 v14, vcc_lo, s17, v26, vcc_lo
	s_mov_b32 s14, exec_lo
	global_store_b64 v[13:14], v[17:18], off
	s_waitcnt_vscnt null, 0x0
	global_atomic_cmpswap_b64 v[11:12], v6, v[15:18], s[4:5] offset:32 glc
	s_waitcnt vmcnt(0)
	v_cmpx_ne_u64_e64 v[11:12], v[17:18]
	s_cbranch_execz .LBB4_91
; %bb.89:                               ;   in Loop: Header=BB4_30 Depth=1
	s_mov_b32 s15, 0
.LBB4_90:                               ;   Parent Loop BB4_30 Depth=1
                                        ; =>  This Inner Loop Header: Depth=2
	v_dual_mov_b32 v9, s12 :: v_dual_mov_b32 v10, s13
	s_sleep 1
	global_store_b64 v[13:14], v[11:12], off
	s_waitcnt_vscnt null, 0x0
	global_atomic_cmpswap_b64 v[9:10], v6, v[9:12], s[4:5] offset:32 glc
	s_waitcnt vmcnt(0)
	v_cmp_eq_u64_e32 vcc_lo, v[9:10], v[11:12]
	v_dual_mov_b32 v12, v10 :: v_dual_mov_b32 v11, v9
	s_or_b32 s15, vcc_lo, s15
	s_delay_alu instid0(SALU_CYCLE_1)
	s_and_not1_b32 exec_lo, exec_lo, s15
	s_cbranch_execnz .LBB4_90
.LBB4_91:                               ;   in Loop: Header=BB4_30 Depth=1
	s_or_b32 exec_lo, exec_lo, s14
	global_load_b64 v[9:10], v6, s[4:5] offset:16
	s_mov_b32 s15, exec_lo
	s_mov_b32 s14, exec_lo
	v_mbcnt_lo_u32_b32 v5, s15, 0
	s_delay_alu instid0(VALU_DEP_1)
	v_cmpx_eq_u32_e32 0, v5
	s_cbranch_execz .LBB4_93
; %bb.92:                               ;   in Loop: Header=BB4_30 Depth=1
	s_bcnt1_i32_b32 s15, s15
	s_delay_alu instid0(SALU_CYCLE_1)
	v_mov_b32_e32 v5, s15
	s_waitcnt vmcnt(0)
	global_atomic_add_u64 v[9:10], v[5:6], off offset:8
.LBB4_93:                               ;   in Loop: Header=BB4_30 Depth=1
	s_or_b32 exec_lo, exec_lo, s14
	s_waitcnt vmcnt(0)
	global_load_b64 v[11:12], v[9:10], off offset:16
	s_waitcnt vmcnt(0)
	v_cmp_eq_u64_e32 vcc_lo, 0, v[11:12]
	s_cbranch_vccnz .LBB4_95
; %bb.94:                               ;   in Loop: Header=BB4_30 Depth=1
	global_load_b32 v5, v[9:10], off offset:24
	s_waitcnt vmcnt(0)
	v_and_b32_e32 v9, 0xffffff, v5
	s_waitcnt_vscnt null, 0x0
	global_store_b64 v[11:12], v[5:6], off
	v_readfirstlane_b32 m0, v9
	s_sendmsg sendmsg(MSG_INTERRUPT)
.LBB4_95:                               ;   in Loop: Header=BB4_30 Depth=1
	s_or_b32 exec_lo, exec_lo, s3
	v_add_co_u32 v9, vcc_lo, v27, v29
	v_add_co_ci_u32_e32 v10, vcc_lo, 0, v28, vcc_lo
	s_branch .LBB4_99
	.p2align	6
.LBB4_96:                               ;   in Loop: Header=BB4_99 Depth=2
	s_or_b32 exec_lo, exec_lo, s3
	s_delay_alu instid0(VALU_DEP_1) | instskip(NEXT) | instid1(VALU_DEP_1)
	v_readfirstlane_b32 s3, v5
	s_cmp_eq_u32 s3, 0
	s_cbranch_scc1 .LBB4_98
; %bb.97:                               ;   in Loop: Header=BB4_99 Depth=2
	s_sleep 1
	s_cbranch_execnz .LBB4_99
	s_branch .LBB4_101
	.p2align	6
.LBB4_98:                               ;   in Loop: Header=BB4_30 Depth=1
	s_branch .LBB4_101
.LBB4_99:                               ;   Parent Loop BB4_30 Depth=1
                                        ; =>  This Inner Loop Header: Depth=2
	v_mov_b32_e32 v5, 1
	s_and_saveexec_b32 s3, s2
	s_cbranch_execz .LBB4_96
; %bb.100:                              ;   in Loop: Header=BB4_99 Depth=2
	global_load_b32 v5, v[0:1], off offset:20 glc
	s_waitcnt vmcnt(0)
	buffer_gl1_inv
	buffer_gl0_inv
	v_and_b32_e32 v5, 1, v5
	s_branch .LBB4_96
.LBB4_101:                              ;   in Loop: Header=BB4_30 Depth=1
	global_load_b128 v[9:12], v[9:10], off
	s_and_saveexec_b32 s3, s2
	s_cbranch_execz .LBB4_29
; %bb.102:                              ;   in Loop: Header=BB4_30 Depth=1
	s_clause 0x2
	global_load_b64 v[0:1], v6, s[4:5] offset:40
	global_load_b64 v[15:16], v6, s[4:5] offset:24 glc
	global_load_b64 v[13:14], v6, s[4:5]
	s_waitcnt vmcnt(2)
	v_add_co_u32 v5, vcc_lo, v0, 1
	v_add_co_ci_u32_e32 v17, vcc_lo, 0, v1, vcc_lo
	s_delay_alu instid0(VALU_DEP_2) | instskip(NEXT) | instid1(VALU_DEP_2)
	v_add_co_u32 v11, vcc_lo, v5, s12
	v_add_co_ci_u32_e32 v12, vcc_lo, s13, v17, vcc_lo
	s_delay_alu instid0(VALU_DEP_1) | instskip(SKIP_2) | instid1(VALU_DEP_2)
	v_cmp_eq_u64_e32 vcc_lo, 0, v[11:12]
	v_cndmask_b32_e32 v11, v11, v5, vcc_lo
	v_cndmask_b32_e32 v12, v12, v17, vcc_lo
	v_and_b32_e32 v0, v11, v0
	s_delay_alu instid0(VALU_DEP_1) | instskip(SKIP_2) | instid1(VALU_DEP_1)
	v_mul_hi_u32 v5, v0, 24
	v_mul_lo_u32 v0, v0, 24
	s_waitcnt vmcnt(0)
	v_add_co_u32 v0, vcc_lo, v13, v0
	v_mov_b32_e32 v13, v15
	v_and_b32_e32 v1, v12, v1
	s_delay_alu instid0(VALU_DEP_1) | instskip(NEXT) | instid1(VALU_DEP_1)
	v_mul_lo_u32 v1, v1, 24
	v_add_nc_u32_e32 v1, v5, v1
	s_delay_alu instid0(VALU_DEP_1)
	v_add_co_ci_u32_e32 v1, vcc_lo, v14, v1, vcc_lo
	v_mov_b32_e32 v14, v16
	global_store_b64 v[0:1], v[15:16], off
	s_waitcnt_vscnt null, 0x0
	global_atomic_cmpswap_b64 v[13:14], v6, v[11:14], s[4:5] offset:24 glc
	s_waitcnt vmcnt(0)
	v_cmp_ne_u64_e32 vcc_lo, v[13:14], v[15:16]
	s_and_b32 exec_lo, exec_lo, vcc_lo
	s_cbranch_execz .LBB4_29
; %bb.103:                              ;   in Loop: Header=BB4_30 Depth=1
	s_mov_b32 s2, 0
.LBB4_104:                              ;   Parent Loop BB4_30 Depth=1
                                        ; =>  This Inner Loop Header: Depth=2
	s_sleep 1
	global_store_b64 v[0:1], v[13:14], off
	s_waitcnt_vscnt null, 0x0
	global_atomic_cmpswap_b64 v[15:16], v6, v[11:14], s[4:5] offset:24 glc
	s_waitcnt vmcnt(0)
	v_cmp_eq_u64_e32 vcc_lo, v[15:16], v[13:14]
	v_dual_mov_b32 v13, v15 :: v_dual_mov_b32 v14, v16
	s_or_b32 s2, vcc_lo, s2
	s_delay_alu instid0(SALU_CYCLE_1)
	s_and_not1_b32 exec_lo, exec_lo, s2
	s_cbranch_execnz .LBB4_104
	s_branch .LBB4_29
.LBB4_105:
	s_branch .LBB4_133
.LBB4_106:
	s_cbranch_execz .LBB4_133
; %bb.107:
	v_readfirstlane_b32 s2, v30
	v_mov_b32_e32 v0, 0
	v_mov_b32_e32 v1, 0
	s_delay_alu instid0(VALU_DEP_3) | instskip(NEXT) | instid1(VALU_DEP_1)
	v_cmp_eq_u32_e64 s2, s2, v30
	s_and_saveexec_b32 s3, s2
	s_cbranch_execz .LBB4_113
; %bb.108:
	v_mov_b32_e32 v5, 0
	s_mov_b32 s6, exec_lo
	global_load_b64 v[8:9], v5, s[4:5] offset:24 glc
	s_waitcnt vmcnt(0)
	buffer_gl1_inv
	buffer_gl0_inv
	s_clause 0x1
	global_load_b64 v[0:1], v5, s[4:5] offset:40
	global_load_b64 v[6:7], v5, s[4:5]
	s_waitcnt vmcnt(1)
	v_and_b32_e32 v0, v0, v8
	v_and_b32_e32 v1, v1, v9
	s_delay_alu instid0(VALU_DEP_2) | instskip(NEXT) | instid1(VALU_DEP_2)
	v_mul_hi_u32 v10, v0, 24
	v_mul_lo_u32 v1, v1, 24
	v_mul_lo_u32 v0, v0, 24
	s_delay_alu instid0(VALU_DEP_2) | instskip(SKIP_1) | instid1(VALU_DEP_2)
	v_add_nc_u32_e32 v1, v10, v1
	s_waitcnt vmcnt(0)
	v_add_co_u32 v0, vcc_lo, v6, v0
	s_delay_alu instid0(VALU_DEP_2)
	v_add_co_ci_u32_e32 v1, vcc_lo, v7, v1, vcc_lo
	global_load_b64 v[6:7], v[0:1], off glc
	s_waitcnt vmcnt(0)
	global_atomic_cmpswap_b64 v[0:1], v5, v[6:9], s[4:5] offset:24 glc
	s_waitcnt vmcnt(0)
	buffer_gl1_inv
	buffer_gl0_inv
	v_cmpx_ne_u64_e64 v[0:1], v[8:9]
	s_cbranch_execz .LBB4_112
; %bb.109:
	s_mov_b32 s7, 0
	.p2align	6
.LBB4_110:                              ; =>This Inner Loop Header: Depth=1
	s_sleep 1
	s_clause 0x1
	global_load_b64 v[6:7], v5, s[4:5] offset:40
	global_load_b64 v[10:11], v5, s[4:5]
	v_dual_mov_b32 v9, v1 :: v_dual_mov_b32 v8, v0
	s_waitcnt vmcnt(1)
	s_delay_alu instid0(VALU_DEP_1) | instskip(SKIP_1) | instid1(VALU_DEP_1)
	v_and_b32_e32 v6, v6, v8
	s_waitcnt vmcnt(0)
	v_mad_u64_u32 v[0:1], null, v6, 24, v[10:11]
	v_and_b32_e32 v10, v7, v9
	s_delay_alu instid0(VALU_DEP_1) | instskip(NEXT) | instid1(VALU_DEP_1)
	v_mad_u64_u32 v[6:7], null, v10, 24, v[1:2]
	v_mov_b32_e32 v1, v6
	global_load_b64 v[6:7], v[0:1], off glc
	s_waitcnt vmcnt(0)
	global_atomic_cmpswap_b64 v[0:1], v5, v[6:9], s[4:5] offset:24 glc
	s_waitcnt vmcnt(0)
	buffer_gl1_inv
	buffer_gl0_inv
	v_cmp_eq_u64_e32 vcc_lo, v[0:1], v[8:9]
	s_or_b32 s7, vcc_lo, s7
	s_delay_alu instid0(SALU_CYCLE_1)
	s_and_not1_b32 exec_lo, exec_lo, s7
	s_cbranch_execnz .LBB4_110
; %bb.111:
	s_or_b32 exec_lo, exec_lo, s7
.LBB4_112:
	s_delay_alu instid0(SALU_CYCLE_1)
	s_or_b32 exec_lo, exec_lo, s6
.LBB4_113:
	s_delay_alu instid0(SALU_CYCLE_1)
	s_or_b32 exec_lo, exec_lo, s3
	v_mov_b32_e32 v5, 0
	v_readfirstlane_b32 s6, v0
	v_readfirstlane_b32 s7, v1
	s_mov_b32 s3, exec_lo
	s_clause 0x1
	global_load_b64 v[11:12], v5, s[4:5] offset:40
	global_load_b128 v[7:10], v5, s[4:5]
	s_waitcnt vmcnt(1)
	v_readfirstlane_b32 s8, v11
	v_readfirstlane_b32 s9, v12
	s_delay_alu instid0(VALU_DEP_1) | instskip(NEXT) | instid1(SALU_CYCLE_1)
	s_and_b64 s[8:9], s[6:7], s[8:9]
	s_mul_i32 s10, s9, 24
	s_mul_hi_u32 s11, s8, 24
	s_mul_i32 s12, s8, 24
	s_add_i32 s11, s11, s10
	s_waitcnt vmcnt(0)
	v_add_co_u32 v0, vcc_lo, v7, s12
	v_add_co_ci_u32_e32 v1, vcc_lo, s11, v8, vcc_lo
	s_and_saveexec_b32 s10, s2
	s_cbranch_execz .LBB4_115
; %bb.114:
	v_dual_mov_b32 v11, s3 :: v_dual_mov_b32 v12, v5
	v_dual_mov_b32 v13, 2 :: v_dual_mov_b32 v14, 1
	global_store_b128 v[0:1], v[11:14], off offset:8
.LBB4_115:
	s_or_b32 exec_lo, exec_lo, s10
	s_lshl_b64 s[8:9], s[8:9], 12
	v_and_or_b32 v3, 0xffffff1d, v3, 34
	v_add_co_u32 v9, vcc_lo, v9, s8
	v_add_co_ci_u32_e32 v10, vcc_lo, s9, v10, vcc_lo
	s_mov_b32 s8, 0
	s_delay_alu instid0(VALU_DEP_2)
	v_readfirstlane_b32 s12, v9
	s_mov_b32 s11, s8
	s_mov_b32 s9, s8
	;; [unrolled: 1-line block ×3, first 2 shown]
	v_mov_b32_e32 v6, v5
	v_readfirstlane_b32 s13, v10
	v_dual_mov_b32 v12, s11 :: v_dual_mov_b32 v9, s8
	v_dual_mov_b32 v11, s10 :: v_dual_mov_b32 v10, s9
	s_clause 0x3
	global_store_b128 v29, v[3:6], s[12:13]
	global_store_b128 v29, v[9:12], s[12:13] offset:16
	global_store_b128 v29, v[9:12], s[12:13] offset:32
	;; [unrolled: 1-line block ×3, first 2 shown]
	s_and_saveexec_b32 s3, s2
	s_cbranch_execz .LBB4_123
; %bb.116:
	v_dual_mov_b32 v9, 0 :: v_dual_mov_b32 v10, s6
	v_mov_b32_e32 v11, s7
	s_clause 0x1
	global_load_b64 v[12:13], v9, s[4:5] offset:32 glc
	global_load_b64 v[3:4], v9, s[4:5] offset:40
	s_waitcnt vmcnt(0)
	v_readfirstlane_b32 s8, v3
	v_readfirstlane_b32 s9, v4
	s_delay_alu instid0(VALU_DEP_1) | instskip(NEXT) | instid1(SALU_CYCLE_1)
	s_and_b64 s[8:9], s[8:9], s[6:7]
	s_mul_i32 s9, s9, 24
	s_mul_hi_u32 s10, s8, 24
	s_mul_i32 s8, s8, 24
	s_add_i32 s10, s10, s9
	v_add_co_u32 v7, vcc_lo, v7, s8
	v_add_co_ci_u32_e32 v8, vcc_lo, s10, v8, vcc_lo
	s_mov_b32 s8, exec_lo
	global_store_b64 v[7:8], v[12:13], off
	s_waitcnt_vscnt null, 0x0
	global_atomic_cmpswap_b64 v[5:6], v9, v[10:13], s[4:5] offset:32 glc
	s_waitcnt vmcnt(0)
	v_cmpx_ne_u64_e64 v[5:6], v[12:13]
	s_cbranch_execz .LBB4_119
; %bb.117:
	s_mov_b32 s9, 0
.LBB4_118:                              ; =>This Inner Loop Header: Depth=1
	v_dual_mov_b32 v3, s6 :: v_dual_mov_b32 v4, s7
	s_sleep 1
	global_store_b64 v[7:8], v[5:6], off
	s_waitcnt_vscnt null, 0x0
	global_atomic_cmpswap_b64 v[3:4], v9, v[3:6], s[4:5] offset:32 glc
	s_waitcnt vmcnt(0)
	v_cmp_eq_u64_e32 vcc_lo, v[3:4], v[5:6]
	v_dual_mov_b32 v6, v4 :: v_dual_mov_b32 v5, v3
	s_or_b32 s9, vcc_lo, s9
	s_delay_alu instid0(SALU_CYCLE_1)
	s_and_not1_b32 exec_lo, exec_lo, s9
	s_cbranch_execnz .LBB4_118
.LBB4_119:
	s_or_b32 exec_lo, exec_lo, s8
	v_mov_b32_e32 v6, 0
	s_mov_b32 s9, exec_lo
	s_mov_b32 s8, exec_lo
	v_mbcnt_lo_u32_b32 v5, s9, 0
	global_load_b64 v[3:4], v6, s[4:5] offset:16
	v_cmpx_eq_u32_e32 0, v5
	s_cbranch_execz .LBB4_121
; %bb.120:
	s_bcnt1_i32_b32 s9, s9
	s_delay_alu instid0(SALU_CYCLE_1)
	v_mov_b32_e32 v5, s9
	s_waitcnt vmcnt(0)
	global_atomic_add_u64 v[3:4], v[5:6], off offset:8
.LBB4_121:
	s_or_b32 exec_lo, exec_lo, s8
	s_waitcnt vmcnt(0)
	global_load_b64 v[5:6], v[3:4], off offset:16
	s_waitcnt vmcnt(0)
	v_cmp_eq_u64_e32 vcc_lo, 0, v[5:6]
	s_cbranch_vccnz .LBB4_123
; %bb.122:
	global_load_b32 v3, v[3:4], off offset:24
	s_waitcnt vmcnt(0)
	v_dual_mov_b32 v4, 0 :: v_dual_and_b32 v7, 0xffffff, v3
	s_waitcnt_vscnt null, 0x0
	global_store_b64 v[5:6], v[3:4], off
	v_readfirstlane_b32 m0, v7
	s_sendmsg sendmsg(MSG_INTERRUPT)
.LBB4_123:
	s_or_b32 exec_lo, exec_lo, s3
	s_branch .LBB4_127
	.p2align	6
.LBB4_124:                              ;   in Loop: Header=BB4_127 Depth=1
	s_or_b32 exec_lo, exec_lo, s3
	s_delay_alu instid0(VALU_DEP_1) | instskip(NEXT) | instid1(VALU_DEP_1)
	v_readfirstlane_b32 s3, v3
	s_cmp_eq_u32 s3, 0
	s_cbranch_scc1 .LBB4_126
; %bb.125:                              ;   in Loop: Header=BB4_127 Depth=1
	s_sleep 1
	s_cbranch_execnz .LBB4_127
	s_branch .LBB4_129
	.p2align	6
.LBB4_126:
	s_branch .LBB4_129
.LBB4_127:                              ; =>This Inner Loop Header: Depth=1
	v_mov_b32_e32 v3, 1
	s_and_saveexec_b32 s3, s2
	s_cbranch_execz .LBB4_124
; %bb.128:                              ;   in Loop: Header=BB4_127 Depth=1
	global_load_b32 v3, v[0:1], off offset:20 glc
	s_waitcnt vmcnt(0)
	buffer_gl1_inv
	buffer_gl0_inv
	v_and_b32_e32 v3, 1, v3
	s_branch .LBB4_124
.LBB4_129:
	s_and_b32 exec_lo, exec_lo, s2
	s_cbranch_execz .LBB4_133
; %bb.130:
	v_mov_b32_e32 v7, 0
	s_clause 0x2
	global_load_b64 v[0:1], v7, s[4:5] offset:40
	global_load_b64 v[8:9], v7, s[4:5] offset:24 glc
	global_load_b64 v[5:6], v7, s[4:5]
	s_waitcnt vmcnt(2)
	v_add_co_u32 v10, vcc_lo, v0, 1
	v_add_co_ci_u32_e32 v11, vcc_lo, 0, v1, vcc_lo
	s_delay_alu instid0(VALU_DEP_2) | instskip(NEXT) | instid1(VALU_DEP_2)
	v_add_co_u32 v3, vcc_lo, v10, s6
	v_add_co_ci_u32_e32 v4, vcc_lo, s7, v11, vcc_lo
	s_delay_alu instid0(VALU_DEP_1) | instskip(SKIP_1) | instid1(VALU_DEP_1)
	v_cmp_eq_u64_e32 vcc_lo, 0, v[3:4]
	v_dual_cndmask_b32 v4, v4, v11 :: v_dual_cndmask_b32 v3, v3, v10
	v_and_b32_e32 v1, v4, v1
	s_delay_alu instid0(VALU_DEP_2) | instskip(NEXT) | instid1(VALU_DEP_2)
	v_and_b32_e32 v0, v3, v0
	v_mul_lo_u32 v1, v1, 24
	s_delay_alu instid0(VALU_DEP_2) | instskip(SKIP_1) | instid1(VALU_DEP_2)
	v_mul_hi_u32 v10, v0, 24
	v_mul_lo_u32 v0, v0, 24
	v_add_nc_u32_e32 v1, v10, v1
	s_waitcnt vmcnt(0)
	s_delay_alu instid0(VALU_DEP_2) | instskip(SKIP_1) | instid1(VALU_DEP_3)
	v_add_co_u32 v0, vcc_lo, v5, v0
	v_mov_b32_e32 v5, v8
	v_add_co_ci_u32_e32 v1, vcc_lo, v6, v1, vcc_lo
	v_mov_b32_e32 v6, v9
	global_store_b64 v[0:1], v[8:9], off
	s_waitcnt_vscnt null, 0x0
	global_atomic_cmpswap_b64 v[5:6], v7, v[3:6], s[4:5] offset:24 glc
	s_waitcnt vmcnt(0)
	v_cmp_ne_u64_e32 vcc_lo, v[5:6], v[8:9]
	s_and_b32 exec_lo, exec_lo, vcc_lo
	s_cbranch_execz .LBB4_133
; %bb.131:
	s_mov_b32 s2, 0
.LBB4_132:                              ; =>This Inner Loop Header: Depth=1
	s_sleep 1
	global_store_b64 v[0:1], v[5:6], off
	s_waitcnt_vscnt null, 0x0
	global_atomic_cmpswap_b64 v[8:9], v7, v[3:6], s[4:5] offset:24 glc
	s_waitcnt vmcnt(0)
	v_cmp_eq_u64_e32 vcc_lo, v[8:9], v[5:6]
	v_dual_mov_b32 v5, v8 :: v_dual_mov_b32 v6, v9
	s_or_b32 s2, vcc_lo, s2
	s_delay_alu instid0(SALU_CYCLE_1)
	s_and_not1_b32 exec_lo, exec_lo, s2
	s_cbranch_execnz .LBB4_132
.LBB4_133:
	s_or_b32 exec_lo, exec_lo, s16
	v_and_b32_e32 v0, 1, v2
	s_waitcnt vmcnt(0) lgkmcnt(0)
	s_waitcnt_vscnt null, 0x0
	s_barrier
	buffer_gl0_inv
	s_mov_b32 s2, exec_lo
	v_cmpx_eq_u32_e32 1, v0
	s_xor_b32 s16, exec_lo, s2
	s_cbranch_execz .LBB4_321
; %bb.134:
	s_mov_b32 s18, exec_lo
	s_mov_b32 s17, exec_lo
	v_mbcnt_lo_u32_b32 v0, s18, 0
	s_delay_alu instid0(VALU_DEP_1)
	v_cmpx_eq_u32_e32 0, v0
	s_cbranch_execz .LBB4_320
; %bb.135:
	s_load_b64 s[4:5], s[0:1], 0x50
	v_mbcnt_lo_u32_b32 v33, -1, 0
	v_mov_b32_e32 v0, 0
	v_mov_b32_e32 v1, 0
	s_delay_alu instid0(VALU_DEP_3) | instskip(NEXT) | instid1(VALU_DEP_1)
	v_readfirstlane_b32 s2, v33
	v_cmp_eq_u32_e64 s2, s2, v33
	s_delay_alu instid0(VALU_DEP_1)
	s_and_saveexec_b32 s3, s2
	s_cbranch_execz .LBB4_141
; %bb.136:
	v_mov_b32_e32 v3, 0
	s_mov_b32 s6, exec_lo
	s_waitcnt lgkmcnt(0)
	global_load_b64 v[6:7], v3, s[4:5] offset:24 glc
	s_waitcnt vmcnt(0)
	buffer_gl1_inv
	buffer_gl0_inv
	s_clause 0x1
	global_load_b64 v[0:1], v3, s[4:5] offset:40
	global_load_b64 v[4:5], v3, s[4:5]
	s_waitcnt vmcnt(1)
	v_and_b32_e32 v0, v0, v6
	v_and_b32_e32 v1, v1, v7
	s_delay_alu instid0(VALU_DEP_2) | instskip(NEXT) | instid1(VALU_DEP_2)
	v_mul_hi_u32 v8, v0, 24
	v_mul_lo_u32 v1, v1, 24
	v_mul_lo_u32 v0, v0, 24
	s_delay_alu instid0(VALU_DEP_2) | instskip(SKIP_1) | instid1(VALU_DEP_2)
	v_add_nc_u32_e32 v1, v8, v1
	s_waitcnt vmcnt(0)
	v_add_co_u32 v0, vcc_lo, v4, v0
	s_delay_alu instid0(VALU_DEP_2)
	v_add_co_ci_u32_e32 v1, vcc_lo, v5, v1, vcc_lo
	global_load_b64 v[4:5], v[0:1], off glc
	s_waitcnt vmcnt(0)
	global_atomic_cmpswap_b64 v[0:1], v3, v[4:7], s[4:5] offset:24 glc
	s_waitcnt vmcnt(0)
	buffer_gl1_inv
	buffer_gl0_inv
	v_cmpx_ne_u64_e64 v[0:1], v[6:7]
	s_cbranch_execz .LBB4_140
; %bb.137:
	s_mov_b32 s7, 0
	.p2align	6
.LBB4_138:                              ; =>This Inner Loop Header: Depth=1
	s_sleep 1
	s_clause 0x1
	global_load_b64 v[4:5], v3, s[4:5] offset:40
	global_load_b64 v[8:9], v3, s[4:5]
	v_dual_mov_b32 v7, v1 :: v_dual_mov_b32 v6, v0
	s_waitcnt vmcnt(1)
	s_delay_alu instid0(VALU_DEP_1) | instskip(SKIP_1) | instid1(VALU_DEP_1)
	v_and_b32_e32 v4, v4, v6
	s_waitcnt vmcnt(0)
	v_mad_u64_u32 v[0:1], null, v4, 24, v[8:9]
	v_and_b32_e32 v8, v5, v7
	s_delay_alu instid0(VALU_DEP_1) | instskip(NEXT) | instid1(VALU_DEP_1)
	v_mad_u64_u32 v[4:5], null, v8, 24, v[1:2]
	v_mov_b32_e32 v1, v4
	global_load_b64 v[4:5], v[0:1], off glc
	s_waitcnt vmcnt(0)
	global_atomic_cmpswap_b64 v[0:1], v3, v[4:7], s[4:5] offset:24 glc
	s_waitcnt vmcnt(0)
	buffer_gl1_inv
	buffer_gl0_inv
	v_cmp_eq_u64_e32 vcc_lo, v[0:1], v[6:7]
	s_or_b32 s7, vcc_lo, s7
	s_delay_alu instid0(SALU_CYCLE_1)
	s_and_not1_b32 exec_lo, exec_lo, s7
	s_cbranch_execnz .LBB4_138
; %bb.139:
	s_or_b32 exec_lo, exec_lo, s7
.LBB4_140:
	s_delay_alu instid0(SALU_CYCLE_1)
	s_or_b32 exec_lo, exec_lo, s6
.LBB4_141:
	s_delay_alu instid0(SALU_CYCLE_1)
	s_or_b32 exec_lo, exec_lo, s3
	v_mov_b32_e32 v8, 0
	v_readfirstlane_b32 s6, v0
	v_readfirstlane_b32 s7, v1
	s_mov_b32 s3, exec_lo
	s_waitcnt lgkmcnt(0)
	s_clause 0x1
	global_load_b64 v[9:10], v8, s[4:5] offset:40
	global_load_b128 v[3:6], v8, s[4:5]
	s_waitcnt vmcnt(1)
	v_readfirstlane_b32 s8, v9
	v_readfirstlane_b32 s9, v10
	s_delay_alu instid0(VALU_DEP_1) | instskip(NEXT) | instid1(SALU_CYCLE_1)
	s_and_b64 s[8:9], s[6:7], s[8:9]
	s_mul_i32 s10, s9, 24
	s_mul_hi_u32 s11, s8, 24
	s_mul_i32 s12, s8, 24
	s_add_i32 s11, s11, s10
	s_waitcnt vmcnt(0)
	v_add_co_u32 v0, vcc_lo, v3, s12
	v_add_co_ci_u32_e32 v1, vcc_lo, s11, v4, vcc_lo
	s_and_saveexec_b32 s10, s2
	s_cbranch_execz .LBB4_143
; %bb.142:
	v_dual_mov_b32 v7, s3 :: v_dual_mov_b32 v10, 1
	v_mov_b32_e32 v9, 2
	global_store_b128 v[0:1], v[7:10], off offset:8
.LBB4_143:
	s_or_b32 exec_lo, exec_lo, s10
	s_lshl_b64 s[8:9], s[8:9], 12
	v_dual_mov_b32 v7, 33 :: v_dual_lshlrev_b32 v32, 6, v33
	v_add_co_u32 v5, vcc_lo, v5, s8
	v_add_co_ci_u32_e32 v6, vcc_lo, s9, v6, vcc_lo
	s_mov_b32 s8, 0
	s_delay_alu instid0(VALU_DEP_2)
	v_add_co_u32 v11, vcc_lo, v5, v32
	s_mov_b32 s11, s8
	s_mov_b32 s9, s8
	;; [unrolled: 1-line block ×3, first 2 shown]
	v_dual_mov_b32 v9, v8 :: v_dual_mov_b32 v16, s11
	v_dual_mov_b32 v10, v8 :: v_dual_mov_b32 v15, s10
	v_readfirstlane_b32 s12, v5
	v_readfirstlane_b32 s13, v6
	v_add_co_ci_u32_e32 v12, vcc_lo, 0, v6, vcc_lo
	v_dual_mov_b32 v14, s9 :: v_dual_mov_b32 v13, s8
	s_clause 0x3
	global_store_b128 v32, v[7:10], s[12:13]
	global_store_b128 v32, v[13:16], s[12:13] offset:16
	global_store_b128 v32, v[13:16], s[12:13] offset:32
	;; [unrolled: 1-line block ×3, first 2 shown]
	s_and_saveexec_b32 s3, s2
	s_cbranch_execz .LBB4_151
; %bb.144:
	v_mov_b32_e32 v9, 0
	s_mov_b32 s8, exec_lo
	s_clause 0x1
	global_load_b64 v[15:16], v9, s[4:5] offset:32 glc
	global_load_b64 v[5:6], v9, s[4:5] offset:40
	v_dual_mov_b32 v14, s7 :: v_dual_mov_b32 v13, s6
	s_waitcnt vmcnt(0)
	v_and_b32_e32 v6, s7, v6
	v_and_b32_e32 v5, s6, v5
	s_delay_alu instid0(VALU_DEP_2) | instskip(NEXT) | instid1(VALU_DEP_2)
	v_mul_lo_u32 v6, v6, 24
	v_mul_hi_u32 v7, v5, 24
	v_mul_lo_u32 v5, v5, 24
	s_delay_alu instid0(VALU_DEP_2) | instskip(NEXT) | instid1(VALU_DEP_2)
	v_add_nc_u32_e32 v6, v7, v6
	v_add_co_u32 v7, vcc_lo, v3, v5
	s_delay_alu instid0(VALU_DEP_2)
	v_add_co_ci_u32_e32 v8, vcc_lo, v4, v6, vcc_lo
	global_store_b64 v[7:8], v[15:16], off
	s_waitcnt_vscnt null, 0x0
	global_atomic_cmpswap_b64 v[5:6], v9, v[13:16], s[4:5] offset:32 glc
	s_waitcnt vmcnt(0)
	v_cmpx_ne_u64_e64 v[5:6], v[15:16]
	s_cbranch_execz .LBB4_147
; %bb.145:
	s_mov_b32 s9, 0
.LBB4_146:                              ; =>This Inner Loop Header: Depth=1
	v_dual_mov_b32 v3, s6 :: v_dual_mov_b32 v4, s7
	s_sleep 1
	global_store_b64 v[7:8], v[5:6], off
	s_waitcnt_vscnt null, 0x0
	global_atomic_cmpswap_b64 v[3:4], v9, v[3:6], s[4:5] offset:32 glc
	s_waitcnt vmcnt(0)
	v_cmp_eq_u64_e32 vcc_lo, v[3:4], v[5:6]
	v_dual_mov_b32 v6, v4 :: v_dual_mov_b32 v5, v3
	s_or_b32 s9, vcc_lo, s9
	s_delay_alu instid0(SALU_CYCLE_1)
	s_and_not1_b32 exec_lo, exec_lo, s9
	s_cbranch_execnz .LBB4_146
.LBB4_147:
	s_or_b32 exec_lo, exec_lo, s8
	v_mov_b32_e32 v6, 0
	s_mov_b32 s9, exec_lo
	s_mov_b32 s8, exec_lo
	v_mbcnt_lo_u32_b32 v5, s9, 0
	global_load_b64 v[3:4], v6, s[4:5] offset:16
	v_cmpx_eq_u32_e32 0, v5
	s_cbranch_execz .LBB4_149
; %bb.148:
	s_bcnt1_i32_b32 s9, s9
	s_delay_alu instid0(SALU_CYCLE_1)
	v_mov_b32_e32 v5, s9
	s_waitcnt vmcnt(0)
	global_atomic_add_u64 v[3:4], v[5:6], off offset:8
.LBB4_149:
	s_or_b32 exec_lo, exec_lo, s8
	s_waitcnt vmcnt(0)
	global_load_b64 v[5:6], v[3:4], off offset:16
	s_waitcnt vmcnt(0)
	v_cmp_eq_u64_e32 vcc_lo, 0, v[5:6]
	s_cbranch_vccnz .LBB4_151
; %bb.150:
	global_load_b32 v3, v[3:4], off offset:24
	s_waitcnt vmcnt(0)
	v_dual_mov_b32 v4, 0 :: v_dual_and_b32 v7, 0xffffff, v3
	s_waitcnt_vscnt null, 0x0
	global_store_b64 v[5:6], v[3:4], off
	v_readfirstlane_b32 m0, v7
	s_sendmsg sendmsg(MSG_INTERRUPT)
.LBB4_151:
	s_or_b32 exec_lo, exec_lo, s3
	s_branch .LBB4_155
	.p2align	6
.LBB4_152:                              ;   in Loop: Header=BB4_155 Depth=1
	s_or_b32 exec_lo, exec_lo, s3
	s_delay_alu instid0(VALU_DEP_1) | instskip(NEXT) | instid1(VALU_DEP_1)
	v_readfirstlane_b32 s3, v3
	s_cmp_eq_u32 s3, 0
	s_cbranch_scc1 .LBB4_154
; %bb.153:                              ;   in Loop: Header=BB4_155 Depth=1
	s_sleep 1
	s_cbranch_execnz .LBB4_155
	s_branch .LBB4_157
	.p2align	6
.LBB4_154:
	s_branch .LBB4_157
.LBB4_155:                              ; =>This Inner Loop Header: Depth=1
	v_mov_b32_e32 v3, 1
	s_and_saveexec_b32 s3, s2
	s_cbranch_execz .LBB4_152
; %bb.156:                              ;   in Loop: Header=BB4_155 Depth=1
	global_load_b32 v3, v[0:1], off offset:20 glc
	s_waitcnt vmcnt(0)
	buffer_gl1_inv
	buffer_gl0_inv
	v_and_b32_e32 v3, 1, v3
	s_branch .LBB4_152
.LBB4_157:
	global_load_b64 v[3:4], v[11:12], off
	s_and_saveexec_b32 s3, s2
	s_cbranch_execz .LBB4_161
; %bb.158:
	v_mov_b32_e32 v9, 0
	s_clause 0x2
	global_load_b64 v[0:1], v9, s[4:5] offset:40
	global_load_b64 v[10:11], v9, s[4:5] offset:24 glc
	global_load_b64 v[7:8], v9, s[4:5]
	s_waitcnt vmcnt(2)
	v_add_co_u32 v12, vcc_lo, v0, 1
	v_add_co_ci_u32_e32 v13, vcc_lo, 0, v1, vcc_lo
	s_delay_alu instid0(VALU_DEP_2) | instskip(NEXT) | instid1(VALU_DEP_2)
	v_add_co_u32 v5, vcc_lo, v12, s6
	v_add_co_ci_u32_e32 v6, vcc_lo, s7, v13, vcc_lo
	s_delay_alu instid0(VALU_DEP_1) | instskip(SKIP_1) | instid1(VALU_DEP_1)
	v_cmp_eq_u64_e32 vcc_lo, 0, v[5:6]
	v_dual_cndmask_b32 v6, v6, v13 :: v_dual_cndmask_b32 v5, v5, v12
	v_and_b32_e32 v1, v6, v1
	s_delay_alu instid0(VALU_DEP_2) | instskip(NEXT) | instid1(VALU_DEP_2)
	v_and_b32_e32 v0, v5, v0
	v_mul_lo_u32 v1, v1, 24
	s_delay_alu instid0(VALU_DEP_2) | instskip(SKIP_1) | instid1(VALU_DEP_2)
	v_mul_hi_u32 v12, v0, 24
	v_mul_lo_u32 v0, v0, 24
	v_add_nc_u32_e32 v1, v12, v1
	s_waitcnt vmcnt(0)
	s_delay_alu instid0(VALU_DEP_2) | instskip(SKIP_1) | instid1(VALU_DEP_3)
	v_add_co_u32 v0, vcc_lo, v7, v0
	v_mov_b32_e32 v7, v10
	v_add_co_ci_u32_e32 v1, vcc_lo, v8, v1, vcc_lo
	v_mov_b32_e32 v8, v11
	global_store_b64 v[0:1], v[10:11], off
	s_waitcnt_vscnt null, 0x0
	global_atomic_cmpswap_b64 v[7:8], v9, v[5:8], s[4:5] offset:24 glc
	s_waitcnt vmcnt(0)
	v_cmp_ne_u64_e32 vcc_lo, v[7:8], v[10:11]
	s_and_b32 exec_lo, exec_lo, vcc_lo
	s_cbranch_execz .LBB4_161
; %bb.159:
	s_mov_b32 s2, 0
.LBB4_160:                              ; =>This Inner Loop Header: Depth=1
	s_sleep 1
	global_store_b64 v[0:1], v[7:8], off
	s_waitcnt_vscnt null, 0x0
	global_atomic_cmpswap_b64 v[10:11], v9, v[5:8], s[4:5] offset:24 glc
	s_waitcnt vmcnt(0)
	v_cmp_eq_u64_e32 vcc_lo, v[10:11], v[7:8]
	v_dual_mov_b32 v7, v10 :: v_dual_mov_b32 v8, v11
	s_or_b32 s2, vcc_lo, s2
	s_delay_alu instid0(SALU_CYCLE_1)
	s_and_not1_b32 exec_lo, exec_lo, s2
	s_cbranch_execnz .LBB4_160
.LBB4_161:
	s_or_b32 exec_lo, exec_lo, s3
	s_getpc_b64 s[6:7]
	s_add_u32 s6, s6, .str.4@rel32@lo+4
	s_addc_u32 s7, s7, .str.4@rel32@hi+12
	s_delay_alu instid0(SALU_CYCLE_1)
	s_cmp_lg_u64 s[6:7], 0
	s_cbranch_scc0 .LBB4_240
; %bb.162:
	s_waitcnt vmcnt(0)
	v_dual_mov_b32 v9, 0 :: v_dual_and_b32 v34, 2, v3
	v_dual_mov_b32 v6, v4 :: v_dual_and_b32 v5, -3, v3
	v_dual_mov_b32 v10, 2 :: v_dual_mov_b32 v11, 1
	s_mov_b64 s[8:9], 0x59
	s_branch .LBB4_164
.LBB4_163:                              ;   in Loop: Header=BB4_164 Depth=1
	s_or_b32 exec_lo, exec_lo, s3
	s_sub_u32 s8, s8, s10
	s_subb_u32 s9, s9, s11
	s_add_u32 s6, s6, s10
	s_addc_u32 s7, s7, s11
	s_cmp_lg_u64 s[8:9], 0
	s_cbranch_scc0 .LBB4_239
.LBB4_164:                              ; =>This Loop Header: Depth=1
                                        ;     Child Loop BB4_173 Depth 2
                                        ;     Child Loop BB4_169 Depth 2
	;; [unrolled: 1-line block ×11, first 2 shown]
	v_cmp_lt_u64_e64 s2, s[8:9], 56
	v_cmp_gt_u64_e64 s3, s[8:9], 7
                                        ; implicit-def: $vgpr14_vgpr15
                                        ; implicit-def: $sgpr19
	s_delay_alu instid0(VALU_DEP_2) | instskip(SKIP_2) | instid1(VALU_DEP_1)
	s_and_b32 s2, s2, exec_lo
	s_cselect_b32 s11, s9, 0
	s_cselect_b32 s10, s8, 56
	s_and_b32 vcc_lo, exec_lo, s3
	s_mov_b32 s2, -1
	s_cbranch_vccz .LBB4_171
; %bb.165:                              ;   in Loop: Header=BB4_164 Depth=1
	s_and_not1_b32 vcc_lo, exec_lo, s2
	s_mov_b64 s[2:3], s[6:7]
	s_cbranch_vccz .LBB4_175
.LBB4_166:                              ;   in Loop: Header=BB4_164 Depth=1
	s_cmp_gt_u32 s19, 7
	s_cbranch_scc1 .LBB4_176
.LBB4_167:                              ;   in Loop: Header=BB4_164 Depth=1
	v_mov_b32_e32 v16, 0
	v_mov_b32_e32 v17, 0
	s_cmp_eq_u32 s19, 0
	s_cbranch_scc1 .LBB4_170
; %bb.168:                              ;   in Loop: Header=BB4_164 Depth=1
	s_mov_b64 s[12:13], 0
	s_mov_b64 s[14:15], 0
.LBB4_169:                              ;   Parent Loop BB4_164 Depth=1
                                        ; =>  This Inner Loop Header: Depth=2
	s_delay_alu instid0(SALU_CYCLE_1)
	s_add_u32 s20, s2, s14
	s_addc_u32 s21, s3, s15
	s_add_u32 s14, s14, 1
	global_load_u8 v0, v9, s[20:21]
	s_addc_u32 s15, s15, 0
	s_waitcnt vmcnt(0)
	v_and_b32_e32 v8, 0xffff, v0
	s_delay_alu instid0(VALU_DEP_1) | instskip(SKIP_3) | instid1(VALU_DEP_1)
	v_lshlrev_b64 v[0:1], s12, v[8:9]
	s_add_u32 s12, s12, 8
	s_addc_u32 s13, s13, 0
	s_cmp_lg_u32 s19, s14
	v_or_b32_e32 v16, v0, v16
	s_delay_alu instid0(VALU_DEP_2)
	v_or_b32_e32 v17, v1, v17
	s_cbranch_scc1 .LBB4_169
.LBB4_170:                              ;   in Loop: Header=BB4_164 Depth=1
	s_mov_b32 s20, 0
	s_cbranch_execz .LBB4_177
	s_branch .LBB4_178
.LBB4_171:                              ;   in Loop: Header=BB4_164 Depth=1
	v_mov_b32_e32 v14, 0
	v_mov_b32_e32 v15, 0
	s_cmp_eq_u64 s[8:9], 0
	s_mov_b64 s[2:3], 0
	s_cbranch_scc1 .LBB4_174
; %bb.172:                              ;   in Loop: Header=BB4_164 Depth=1
	v_mov_b32_e32 v14, 0
	v_mov_b32_e32 v15, 0
	s_lshl_b64 s[12:13], s[10:11], 3
	s_mov_b64 s[14:15], s[6:7]
.LBB4_173:                              ;   Parent Loop BB4_164 Depth=1
                                        ; =>  This Inner Loop Header: Depth=2
	global_load_u8 v0, v9, s[14:15]
	s_waitcnt vmcnt(0)
	v_and_b32_e32 v8, 0xffff, v0
	s_delay_alu instid0(VALU_DEP_1)
	v_lshlrev_b64 v[0:1], s2, v[8:9]
	s_add_u32 s2, s2, 8
	s_addc_u32 s3, s3, 0
	s_add_u32 s14, s14, 1
	s_addc_u32 s15, s15, 0
	s_cmp_lg_u32 s12, s2
	v_or_b32_e32 v14, v0, v14
	v_or_b32_e32 v15, v1, v15
	s_cbranch_scc1 .LBB4_173
.LBB4_174:                              ;   in Loop: Header=BB4_164 Depth=1
	s_mov_b32 s19, 0
	s_mov_b64 s[2:3], s[6:7]
	s_cbranch_execnz .LBB4_166
.LBB4_175:                              ;   in Loop: Header=BB4_164 Depth=1
	global_load_b64 v[14:15], v9, s[6:7]
	s_add_i32 s19, s10, -8
	s_add_u32 s2, s6, 8
	s_addc_u32 s3, s7, 0
	s_cmp_gt_u32 s19, 7
	s_cbranch_scc0 .LBB4_167
.LBB4_176:                              ;   in Loop: Header=BB4_164 Depth=1
                                        ; implicit-def: $vgpr16_vgpr17
                                        ; implicit-def: $sgpr20
.LBB4_177:                              ;   in Loop: Header=BB4_164 Depth=1
	global_load_b64 v[16:17], v9, s[2:3]
	s_add_i32 s20, s19, -8
	s_add_u32 s2, s2, 8
	s_addc_u32 s3, s3, 0
.LBB4_178:                              ;   in Loop: Header=BB4_164 Depth=1
	s_cmp_gt_u32 s20, 7
	s_cbranch_scc1 .LBB4_183
; %bb.179:                              ;   in Loop: Header=BB4_164 Depth=1
	v_mov_b32_e32 v18, 0
	v_mov_b32_e32 v19, 0
	s_cmp_eq_u32 s20, 0
	s_cbranch_scc1 .LBB4_182
; %bb.180:                              ;   in Loop: Header=BB4_164 Depth=1
	s_mov_b64 s[12:13], 0
	s_mov_b64 s[14:15], 0
.LBB4_181:                              ;   Parent Loop BB4_164 Depth=1
                                        ; =>  This Inner Loop Header: Depth=2
	s_delay_alu instid0(SALU_CYCLE_1)
	s_add_u32 s22, s2, s14
	s_addc_u32 s23, s3, s15
	s_add_u32 s14, s14, 1
	global_load_u8 v0, v9, s[22:23]
	s_addc_u32 s15, s15, 0
	s_waitcnt vmcnt(0)
	v_and_b32_e32 v8, 0xffff, v0
	s_delay_alu instid0(VALU_DEP_1) | instskip(SKIP_3) | instid1(VALU_DEP_1)
	v_lshlrev_b64 v[0:1], s12, v[8:9]
	s_add_u32 s12, s12, 8
	s_addc_u32 s13, s13, 0
	s_cmp_lg_u32 s20, s14
	v_or_b32_e32 v18, v0, v18
	s_delay_alu instid0(VALU_DEP_2)
	v_or_b32_e32 v19, v1, v19
	s_cbranch_scc1 .LBB4_181
.LBB4_182:                              ;   in Loop: Header=BB4_164 Depth=1
	s_mov_b32 s19, 0
	s_cbranch_execz .LBB4_184
	s_branch .LBB4_185
.LBB4_183:                              ;   in Loop: Header=BB4_164 Depth=1
                                        ; implicit-def: $sgpr19
.LBB4_184:                              ;   in Loop: Header=BB4_164 Depth=1
	global_load_b64 v[18:19], v9, s[2:3]
	s_add_i32 s19, s20, -8
	s_add_u32 s2, s2, 8
	s_addc_u32 s3, s3, 0
.LBB4_185:                              ;   in Loop: Header=BB4_164 Depth=1
	s_cmp_gt_u32 s19, 7
	s_cbranch_scc1 .LBB4_190
; %bb.186:                              ;   in Loop: Header=BB4_164 Depth=1
	v_mov_b32_e32 v20, 0
	v_mov_b32_e32 v21, 0
	s_cmp_eq_u32 s19, 0
	s_cbranch_scc1 .LBB4_189
; %bb.187:                              ;   in Loop: Header=BB4_164 Depth=1
	s_mov_b64 s[12:13], 0
	s_mov_b64 s[14:15], 0
.LBB4_188:                              ;   Parent Loop BB4_164 Depth=1
                                        ; =>  This Inner Loop Header: Depth=2
	s_delay_alu instid0(SALU_CYCLE_1)
	s_add_u32 s20, s2, s14
	s_addc_u32 s21, s3, s15
	s_add_u32 s14, s14, 1
	global_load_u8 v0, v9, s[20:21]
	s_addc_u32 s15, s15, 0
	s_waitcnt vmcnt(0)
	v_and_b32_e32 v8, 0xffff, v0
	s_delay_alu instid0(VALU_DEP_1) | instskip(SKIP_3) | instid1(VALU_DEP_1)
	v_lshlrev_b64 v[0:1], s12, v[8:9]
	s_add_u32 s12, s12, 8
	s_addc_u32 s13, s13, 0
	s_cmp_lg_u32 s19, s14
	v_or_b32_e32 v20, v0, v20
	s_delay_alu instid0(VALU_DEP_2)
	v_or_b32_e32 v21, v1, v21
	s_cbranch_scc1 .LBB4_188
.LBB4_189:                              ;   in Loop: Header=BB4_164 Depth=1
	s_mov_b32 s20, 0
	s_cbranch_execz .LBB4_191
	s_branch .LBB4_192
.LBB4_190:                              ;   in Loop: Header=BB4_164 Depth=1
                                        ; implicit-def: $vgpr20_vgpr21
                                        ; implicit-def: $sgpr20
.LBB4_191:                              ;   in Loop: Header=BB4_164 Depth=1
	global_load_b64 v[20:21], v9, s[2:3]
	s_add_i32 s20, s19, -8
	s_add_u32 s2, s2, 8
	s_addc_u32 s3, s3, 0
.LBB4_192:                              ;   in Loop: Header=BB4_164 Depth=1
	s_cmp_gt_u32 s20, 7
	s_cbranch_scc1 .LBB4_197
; %bb.193:                              ;   in Loop: Header=BB4_164 Depth=1
	v_mov_b32_e32 v22, 0
	v_mov_b32_e32 v23, 0
	s_cmp_eq_u32 s20, 0
	s_cbranch_scc1 .LBB4_196
; %bb.194:                              ;   in Loop: Header=BB4_164 Depth=1
	s_mov_b64 s[12:13], 0
	s_mov_b64 s[14:15], 0
.LBB4_195:                              ;   Parent Loop BB4_164 Depth=1
                                        ; =>  This Inner Loop Header: Depth=2
	s_delay_alu instid0(SALU_CYCLE_1)
	s_add_u32 s22, s2, s14
	s_addc_u32 s23, s3, s15
	s_add_u32 s14, s14, 1
	global_load_u8 v0, v9, s[22:23]
	s_addc_u32 s15, s15, 0
	s_waitcnt vmcnt(0)
	v_and_b32_e32 v8, 0xffff, v0
	s_delay_alu instid0(VALU_DEP_1) | instskip(SKIP_3) | instid1(VALU_DEP_1)
	v_lshlrev_b64 v[0:1], s12, v[8:9]
	s_add_u32 s12, s12, 8
	s_addc_u32 s13, s13, 0
	s_cmp_lg_u32 s20, s14
	v_or_b32_e32 v22, v0, v22
	s_delay_alu instid0(VALU_DEP_2)
	v_or_b32_e32 v23, v1, v23
	s_cbranch_scc1 .LBB4_195
.LBB4_196:                              ;   in Loop: Header=BB4_164 Depth=1
	s_mov_b32 s19, 0
	s_cbranch_execz .LBB4_198
	s_branch .LBB4_199
.LBB4_197:                              ;   in Loop: Header=BB4_164 Depth=1
                                        ; implicit-def: $sgpr19
.LBB4_198:                              ;   in Loop: Header=BB4_164 Depth=1
	global_load_b64 v[22:23], v9, s[2:3]
	s_add_i32 s19, s20, -8
	s_add_u32 s2, s2, 8
	s_addc_u32 s3, s3, 0
.LBB4_199:                              ;   in Loop: Header=BB4_164 Depth=1
	s_cmp_gt_u32 s19, 7
	s_cbranch_scc1 .LBB4_204
; %bb.200:                              ;   in Loop: Header=BB4_164 Depth=1
	v_mov_b32_e32 v24, 0
	v_mov_b32_e32 v25, 0
	s_cmp_eq_u32 s19, 0
	s_cbranch_scc1 .LBB4_203
; %bb.201:                              ;   in Loop: Header=BB4_164 Depth=1
	s_mov_b64 s[12:13], 0
	s_mov_b64 s[14:15], 0
.LBB4_202:                              ;   Parent Loop BB4_164 Depth=1
                                        ; =>  This Inner Loop Header: Depth=2
	s_delay_alu instid0(SALU_CYCLE_1)
	s_add_u32 s20, s2, s14
	s_addc_u32 s21, s3, s15
	s_add_u32 s14, s14, 1
	global_load_u8 v0, v9, s[20:21]
	s_addc_u32 s15, s15, 0
	s_waitcnt vmcnt(0)
	v_and_b32_e32 v8, 0xffff, v0
	s_delay_alu instid0(VALU_DEP_1) | instskip(SKIP_3) | instid1(VALU_DEP_1)
	v_lshlrev_b64 v[0:1], s12, v[8:9]
	s_add_u32 s12, s12, 8
	s_addc_u32 s13, s13, 0
	s_cmp_lg_u32 s19, s14
	v_or_b32_e32 v24, v0, v24
	s_delay_alu instid0(VALU_DEP_2)
	v_or_b32_e32 v25, v1, v25
	s_cbranch_scc1 .LBB4_202
.LBB4_203:                              ;   in Loop: Header=BB4_164 Depth=1
	s_mov_b32 s20, 0
	s_cbranch_execz .LBB4_205
	s_branch .LBB4_206
.LBB4_204:                              ;   in Loop: Header=BB4_164 Depth=1
                                        ; implicit-def: $vgpr24_vgpr25
                                        ; implicit-def: $sgpr20
.LBB4_205:                              ;   in Loop: Header=BB4_164 Depth=1
	global_load_b64 v[24:25], v9, s[2:3]
	s_add_i32 s20, s19, -8
	s_add_u32 s2, s2, 8
	s_addc_u32 s3, s3, 0
.LBB4_206:                              ;   in Loop: Header=BB4_164 Depth=1
	s_cmp_gt_u32 s20, 7
	s_cbranch_scc1 .LBB4_211
; %bb.207:                              ;   in Loop: Header=BB4_164 Depth=1
	v_mov_b32_e32 v26, 0
	v_mov_b32_e32 v27, 0
	s_cmp_eq_u32 s20, 0
	s_cbranch_scc1 .LBB4_210
; %bb.208:                              ;   in Loop: Header=BB4_164 Depth=1
	s_mov_b64 s[12:13], 0
	s_mov_b64 s[14:15], s[2:3]
.LBB4_209:                              ;   Parent Loop BB4_164 Depth=1
                                        ; =>  This Inner Loop Header: Depth=2
	global_load_u8 v0, v9, s[14:15]
	s_add_i32 s20, s20, -1
	s_waitcnt vmcnt(0)
	v_and_b32_e32 v8, 0xffff, v0
	s_delay_alu instid0(VALU_DEP_1)
	v_lshlrev_b64 v[0:1], s12, v[8:9]
	s_add_u32 s12, s12, 8
	s_addc_u32 s13, s13, 0
	s_add_u32 s14, s14, 1
	s_addc_u32 s15, s15, 0
	s_cmp_lg_u32 s20, 0
	v_or_b32_e32 v26, v0, v26
	v_or_b32_e32 v27, v1, v27
	s_cbranch_scc1 .LBB4_209
.LBB4_210:                              ;   in Loop: Header=BB4_164 Depth=1
	s_cbranch_execz .LBB4_212
	s_branch .LBB4_213
.LBB4_211:                              ;   in Loop: Header=BB4_164 Depth=1
.LBB4_212:                              ;   in Loop: Header=BB4_164 Depth=1
	global_load_b64 v[26:27], v9, s[2:3]
.LBB4_213:                              ;   in Loop: Header=BB4_164 Depth=1
	v_readfirstlane_b32 s2, v33
	v_mov_b32_e32 v0, 0
	v_mov_b32_e32 v1, 0
	s_delay_alu instid0(VALU_DEP_3) | instskip(NEXT) | instid1(VALU_DEP_1)
	v_cmp_eq_u32_e64 s2, s2, v33
	s_and_saveexec_b32 s3, s2
	s_cbranch_execz .LBB4_219
; %bb.214:                              ;   in Loop: Header=BB4_164 Depth=1
	global_load_b64 v[30:31], v9, s[4:5] offset:24 glc
	s_waitcnt vmcnt(0)
	buffer_gl1_inv
	buffer_gl0_inv
	s_clause 0x1
	global_load_b64 v[0:1], v9, s[4:5] offset:40
	global_load_b64 v[7:8], v9, s[4:5]
	s_mov_b32 s12, exec_lo
	s_waitcnt vmcnt(1)
	v_and_b32_e32 v1, v1, v31
	v_and_b32_e32 v0, v0, v30
	s_delay_alu instid0(VALU_DEP_2) | instskip(NEXT) | instid1(VALU_DEP_2)
	v_mul_lo_u32 v1, v1, 24
	v_mul_hi_u32 v12, v0, 24
	v_mul_lo_u32 v0, v0, 24
	s_delay_alu instid0(VALU_DEP_2) | instskip(SKIP_1) | instid1(VALU_DEP_2)
	v_add_nc_u32_e32 v1, v12, v1
	s_waitcnt vmcnt(0)
	v_add_co_u32 v0, vcc_lo, v7, v0
	s_delay_alu instid0(VALU_DEP_2)
	v_add_co_ci_u32_e32 v1, vcc_lo, v8, v1, vcc_lo
	global_load_b64 v[28:29], v[0:1], off glc
	s_waitcnt vmcnt(0)
	global_atomic_cmpswap_b64 v[0:1], v9, v[28:31], s[4:5] offset:24 glc
	s_waitcnt vmcnt(0)
	buffer_gl1_inv
	buffer_gl0_inv
	v_cmpx_ne_u64_e64 v[0:1], v[30:31]
	s_cbranch_execz .LBB4_218
; %bb.215:                              ;   in Loop: Header=BB4_164 Depth=1
	s_mov_b32 s13, 0
	.p2align	6
.LBB4_216:                              ;   Parent Loop BB4_164 Depth=1
                                        ; =>  This Inner Loop Header: Depth=2
	s_sleep 1
	s_clause 0x1
	global_load_b64 v[7:8], v9, s[4:5] offset:40
	global_load_b64 v[12:13], v9, s[4:5]
	v_dual_mov_b32 v31, v1 :: v_dual_mov_b32 v30, v0
	s_waitcnt vmcnt(1)
	s_delay_alu instid0(VALU_DEP_1) | instskip(SKIP_1) | instid1(VALU_DEP_1)
	v_and_b32_e32 v7, v7, v30
	s_waitcnt vmcnt(0)
	v_mad_u64_u32 v[0:1], null, v7, 24, v[12:13]
	v_and_b32_e32 v12, v8, v31
	s_delay_alu instid0(VALU_DEP_1) | instskip(NEXT) | instid1(VALU_DEP_1)
	v_mad_u64_u32 v[7:8], null, v12, 24, v[1:2]
	v_mov_b32_e32 v1, v7
	global_load_b64 v[28:29], v[0:1], off glc
	s_waitcnt vmcnt(0)
	global_atomic_cmpswap_b64 v[0:1], v9, v[28:31], s[4:5] offset:24 glc
	s_waitcnt vmcnt(0)
	buffer_gl1_inv
	buffer_gl0_inv
	v_cmp_eq_u64_e32 vcc_lo, v[0:1], v[30:31]
	s_or_b32 s13, vcc_lo, s13
	s_delay_alu instid0(SALU_CYCLE_1)
	s_and_not1_b32 exec_lo, exec_lo, s13
	s_cbranch_execnz .LBB4_216
; %bb.217:                              ;   in Loop: Header=BB4_164 Depth=1
	s_or_b32 exec_lo, exec_lo, s13
.LBB4_218:                              ;   in Loop: Header=BB4_164 Depth=1
	s_delay_alu instid0(SALU_CYCLE_1)
	s_or_b32 exec_lo, exec_lo, s12
.LBB4_219:                              ;   in Loop: Header=BB4_164 Depth=1
	s_delay_alu instid0(SALU_CYCLE_1)
	s_or_b32 exec_lo, exec_lo, s3
	s_clause 0x1
	global_load_b64 v[7:8], v9, s[4:5] offset:40
	global_load_b128 v[28:31], v9, s[4:5]
	v_readfirstlane_b32 s12, v0
	v_readfirstlane_b32 s13, v1
	s_mov_b32 s3, exec_lo
	s_waitcnt vmcnt(1)
	v_readfirstlane_b32 s14, v7
	v_readfirstlane_b32 s15, v8
	s_delay_alu instid0(VALU_DEP_1) | instskip(NEXT) | instid1(SALU_CYCLE_1)
	s_and_b64 s[14:15], s[12:13], s[14:15]
	s_mul_i32 s19, s15, 24
	s_mul_hi_u32 s20, s14, 24
	s_mul_i32 s21, s14, 24
	s_add_i32 s20, s20, s19
	s_waitcnt vmcnt(0)
	v_add_co_u32 v0, vcc_lo, v28, s21
	v_add_co_ci_u32_e32 v1, vcc_lo, s20, v29, vcc_lo
	s_and_saveexec_b32 s19, s2
	s_cbranch_execz .LBB4_221
; %bb.220:                              ;   in Loop: Header=BB4_164 Depth=1
	v_mov_b32_e32 v8, s3
	global_store_b128 v[0:1], v[8:11], off offset:8
.LBB4_221:                              ;   in Loop: Header=BB4_164 Depth=1
	s_or_b32 exec_lo, exec_lo, s19
	s_lshl_b64 s[14:15], s[14:15], 12
	v_cmp_gt_u64_e64 vcc_lo, s[8:9], 56
	v_or_b32_e32 v8, v5, v34
	v_add_co_u32 v30, s3, v30, s14
	s_delay_alu instid0(VALU_DEP_1)
	v_add_co_ci_u32_e64 v31, s3, s15, v31, s3
	s_lshl_b32 s3, s10, 2
	v_or_b32_e32 v7, 0, v6
	v_cndmask_b32_e32 v5, v8, v5, vcc_lo
	s_add_i32 s3, s3, 28
	v_readfirstlane_b32 s14, v30
	s_and_b32 s3, s3, 0x1e0
	v_cndmask_b32_e32 v13, v7, v6, vcc_lo
	v_readfirstlane_b32 s15, v31
	v_and_or_b32 v12, 0xffffff1f, v5, s3
	s_clause 0x3
	global_store_b128 v32, v[12:15], s[14:15]
	global_store_b128 v32, v[16:19], s[14:15] offset:16
	global_store_b128 v32, v[20:23], s[14:15] offset:32
	;; [unrolled: 1-line block ×3, first 2 shown]
	s_and_saveexec_b32 s3, s2
	s_cbranch_execz .LBB4_229
; %bb.222:                              ;   in Loop: Header=BB4_164 Depth=1
	s_clause 0x1
	global_load_b64 v[16:17], v9, s[4:5] offset:32 glc
	global_load_b64 v[5:6], v9, s[4:5] offset:40
	v_dual_mov_b32 v14, s12 :: v_dual_mov_b32 v15, s13
	s_waitcnt vmcnt(0)
	v_readfirstlane_b32 s14, v5
	v_readfirstlane_b32 s15, v6
	s_delay_alu instid0(VALU_DEP_1) | instskip(NEXT) | instid1(SALU_CYCLE_1)
	s_and_b64 s[14:15], s[14:15], s[12:13]
	s_mul_i32 s15, s15, 24
	s_mul_hi_u32 s19, s14, 24
	s_mul_i32 s14, s14, 24
	s_add_i32 s19, s19, s15
	v_add_co_u32 v12, vcc_lo, v28, s14
	v_add_co_ci_u32_e32 v13, vcc_lo, s19, v29, vcc_lo
	s_mov_b32 s14, exec_lo
	global_store_b64 v[12:13], v[16:17], off
	s_waitcnt_vscnt null, 0x0
	global_atomic_cmpswap_b64 v[7:8], v9, v[14:17], s[4:5] offset:32 glc
	s_waitcnt vmcnt(0)
	v_cmpx_ne_u64_e64 v[7:8], v[16:17]
	s_cbranch_execz .LBB4_225
; %bb.223:                              ;   in Loop: Header=BB4_164 Depth=1
	s_mov_b32 s15, 0
.LBB4_224:                              ;   Parent Loop BB4_164 Depth=1
                                        ; =>  This Inner Loop Header: Depth=2
	v_dual_mov_b32 v5, s12 :: v_dual_mov_b32 v6, s13
	s_sleep 1
	global_store_b64 v[12:13], v[7:8], off
	s_waitcnt_vscnt null, 0x0
	global_atomic_cmpswap_b64 v[5:6], v9, v[5:8], s[4:5] offset:32 glc
	s_waitcnt vmcnt(0)
	v_cmp_eq_u64_e32 vcc_lo, v[5:6], v[7:8]
	v_dual_mov_b32 v8, v6 :: v_dual_mov_b32 v7, v5
	s_or_b32 s15, vcc_lo, s15
	s_delay_alu instid0(SALU_CYCLE_1)
	s_and_not1_b32 exec_lo, exec_lo, s15
	s_cbranch_execnz .LBB4_224
.LBB4_225:                              ;   in Loop: Header=BB4_164 Depth=1
	s_or_b32 exec_lo, exec_lo, s14
	global_load_b64 v[5:6], v9, s[4:5] offset:16
	s_mov_b32 s15, exec_lo
	s_mov_b32 s14, exec_lo
	v_mbcnt_lo_u32_b32 v7, s15, 0
	s_delay_alu instid0(VALU_DEP_1)
	v_cmpx_eq_u32_e32 0, v7
	s_cbranch_execz .LBB4_227
; %bb.226:                              ;   in Loop: Header=BB4_164 Depth=1
	s_bcnt1_i32_b32 s15, s15
	s_delay_alu instid0(SALU_CYCLE_1)
	v_mov_b32_e32 v8, s15
	s_waitcnt vmcnt(0)
	global_atomic_add_u64 v[5:6], v[8:9], off offset:8
.LBB4_227:                              ;   in Loop: Header=BB4_164 Depth=1
	s_or_b32 exec_lo, exec_lo, s14
	s_waitcnt vmcnt(0)
	global_load_b64 v[12:13], v[5:6], off offset:16
	s_waitcnt vmcnt(0)
	v_cmp_eq_u64_e32 vcc_lo, 0, v[12:13]
	s_cbranch_vccnz .LBB4_229
; %bb.228:                              ;   in Loop: Header=BB4_164 Depth=1
	global_load_b32 v8, v[5:6], off offset:24
	s_waitcnt vmcnt(0)
	v_and_b32_e32 v5, 0xffffff, v8
	s_waitcnt_vscnt null, 0x0
	global_store_b64 v[12:13], v[8:9], off
	v_readfirstlane_b32 m0, v5
	s_sendmsg sendmsg(MSG_INTERRUPT)
.LBB4_229:                              ;   in Loop: Header=BB4_164 Depth=1
	s_or_b32 exec_lo, exec_lo, s3
	v_add_co_u32 v5, vcc_lo, v30, v32
	v_add_co_ci_u32_e32 v6, vcc_lo, 0, v31, vcc_lo
	s_branch .LBB4_233
	.p2align	6
.LBB4_230:                              ;   in Loop: Header=BB4_233 Depth=2
	s_or_b32 exec_lo, exec_lo, s3
	s_delay_alu instid0(VALU_DEP_1) | instskip(NEXT) | instid1(VALU_DEP_1)
	v_readfirstlane_b32 s3, v7
	s_cmp_eq_u32 s3, 0
	s_cbranch_scc1 .LBB4_232
; %bb.231:                              ;   in Loop: Header=BB4_233 Depth=2
	s_sleep 1
	s_cbranch_execnz .LBB4_233
	s_branch .LBB4_235
	.p2align	6
.LBB4_232:                              ;   in Loop: Header=BB4_164 Depth=1
	s_branch .LBB4_235
.LBB4_233:                              ;   Parent Loop BB4_164 Depth=1
                                        ; =>  This Inner Loop Header: Depth=2
	v_mov_b32_e32 v7, 1
	s_and_saveexec_b32 s3, s2
	s_cbranch_execz .LBB4_230
; %bb.234:                              ;   in Loop: Header=BB4_233 Depth=2
	global_load_b32 v7, v[0:1], off offset:20 glc
	s_waitcnt vmcnt(0)
	buffer_gl1_inv
	buffer_gl0_inv
	v_and_b32_e32 v7, 1, v7
	s_branch .LBB4_230
.LBB4_235:                              ;   in Loop: Header=BB4_164 Depth=1
	global_load_b128 v[5:8], v[5:6], off
	s_and_saveexec_b32 s3, s2
	s_cbranch_execz .LBB4_163
; %bb.236:                              ;   in Loop: Header=BB4_164 Depth=1
	s_clause 0x2
	global_load_b64 v[0:1], v9, s[4:5] offset:40
	global_load_b64 v[7:8], v9, s[4:5] offset:24 glc
	global_load_b64 v[14:15], v9, s[4:5]
	s_waitcnt vmcnt(2)
	v_add_co_u32 v16, vcc_lo, v0, 1
	v_add_co_ci_u32_e32 v17, vcc_lo, 0, v1, vcc_lo
	s_delay_alu instid0(VALU_DEP_2) | instskip(NEXT) | instid1(VALU_DEP_2)
	v_add_co_u32 v12, vcc_lo, v16, s12
	v_add_co_ci_u32_e32 v13, vcc_lo, s13, v17, vcc_lo
	s_delay_alu instid0(VALU_DEP_1) | instskip(SKIP_1) | instid1(VALU_DEP_1)
	v_cmp_eq_u64_e32 vcc_lo, 0, v[12:13]
	v_dual_cndmask_b32 v13, v13, v17 :: v_dual_cndmask_b32 v12, v12, v16
	v_and_b32_e32 v1, v13, v1
	s_delay_alu instid0(VALU_DEP_2) | instskip(NEXT) | instid1(VALU_DEP_1)
	v_and_b32_e32 v0, v12, v0
	v_mul_hi_u32 v16, v0, 24
	v_mul_lo_u32 v0, v0, 24
	s_waitcnt vmcnt(0)
	s_delay_alu instid0(VALU_DEP_1) | instskip(SKIP_2) | instid1(VALU_DEP_1)
	v_add_co_u32 v0, vcc_lo, v14, v0
	v_mov_b32_e32 v14, v7
	v_mul_lo_u32 v1, v1, 24
	v_add_nc_u32_e32 v1, v16, v1
	s_delay_alu instid0(VALU_DEP_1)
	v_add_co_ci_u32_e32 v1, vcc_lo, v15, v1, vcc_lo
	v_mov_b32_e32 v15, v8
	global_store_b64 v[0:1], v[7:8], off
	s_waitcnt_vscnt null, 0x0
	global_atomic_cmpswap_b64 v[14:15], v9, v[12:15], s[4:5] offset:24 glc
	s_waitcnt vmcnt(0)
	v_cmp_ne_u64_e32 vcc_lo, v[14:15], v[7:8]
	s_and_b32 exec_lo, exec_lo, vcc_lo
	s_cbranch_execz .LBB4_163
; %bb.237:                              ;   in Loop: Header=BB4_164 Depth=1
	s_mov_b32 s2, 0
.LBB4_238:                              ;   Parent Loop BB4_164 Depth=1
                                        ; =>  This Inner Loop Header: Depth=2
	s_sleep 1
	global_store_b64 v[0:1], v[14:15], off
	s_waitcnt_vscnt null, 0x0
	global_atomic_cmpswap_b64 v[7:8], v9, v[12:15], s[4:5] offset:24 glc
	s_waitcnt vmcnt(0)
	v_cmp_eq_u64_e32 vcc_lo, v[7:8], v[14:15]
	v_dual_mov_b32 v15, v8 :: v_dual_mov_b32 v14, v7
	s_or_b32 s2, vcc_lo, s2
	s_delay_alu instid0(SALU_CYCLE_1)
	s_and_not1_b32 exec_lo, exec_lo, s2
	s_cbranch_execnz .LBB4_238
	s_branch .LBB4_163
.LBB4_239:
	s_branch .LBB4_268
.LBB4_240:
                                        ; implicit-def: $vgpr5_vgpr6
	s_cbranch_execz .LBB4_268
; %bb.241:
	v_readfirstlane_b32 s2, v33
	v_mov_b32_e32 v0, 0
	v_mov_b32_e32 v1, 0
	s_delay_alu instid0(VALU_DEP_3) | instskip(NEXT) | instid1(VALU_DEP_1)
	v_cmp_eq_u32_e64 s2, s2, v33
	s_and_saveexec_b32 s3, s2
	s_cbranch_execz .LBB4_247
; %bb.242:
	s_waitcnt vmcnt(0)
	v_mov_b32_e32 v5, 0
	s_mov_b32 s6, exec_lo
	global_load_b64 v[8:9], v5, s[4:5] offset:24 glc
	s_waitcnt vmcnt(0)
	buffer_gl1_inv
	buffer_gl0_inv
	s_clause 0x1
	global_load_b64 v[0:1], v5, s[4:5] offset:40
	global_load_b64 v[6:7], v5, s[4:5]
	s_waitcnt vmcnt(1)
	v_and_b32_e32 v0, v0, v8
	v_and_b32_e32 v1, v1, v9
	s_delay_alu instid0(VALU_DEP_2) | instskip(NEXT) | instid1(VALU_DEP_2)
	v_mul_hi_u32 v10, v0, 24
	v_mul_lo_u32 v1, v1, 24
	v_mul_lo_u32 v0, v0, 24
	s_delay_alu instid0(VALU_DEP_2) | instskip(SKIP_1) | instid1(VALU_DEP_2)
	v_add_nc_u32_e32 v1, v10, v1
	s_waitcnt vmcnt(0)
	v_add_co_u32 v0, vcc_lo, v6, v0
	s_delay_alu instid0(VALU_DEP_2)
	v_add_co_ci_u32_e32 v1, vcc_lo, v7, v1, vcc_lo
	global_load_b64 v[6:7], v[0:1], off glc
	s_waitcnt vmcnt(0)
	global_atomic_cmpswap_b64 v[0:1], v5, v[6:9], s[4:5] offset:24 glc
	s_waitcnt vmcnt(0)
	buffer_gl1_inv
	buffer_gl0_inv
	v_cmpx_ne_u64_e64 v[0:1], v[8:9]
	s_cbranch_execz .LBB4_246
; %bb.243:
	s_mov_b32 s7, 0
	.p2align	6
.LBB4_244:                              ; =>This Inner Loop Header: Depth=1
	s_sleep 1
	s_clause 0x1
	global_load_b64 v[6:7], v5, s[4:5] offset:40
	global_load_b64 v[10:11], v5, s[4:5]
	v_dual_mov_b32 v9, v1 :: v_dual_mov_b32 v8, v0
	s_waitcnt vmcnt(1)
	s_delay_alu instid0(VALU_DEP_1) | instskip(SKIP_1) | instid1(VALU_DEP_1)
	v_and_b32_e32 v6, v6, v8
	s_waitcnt vmcnt(0)
	v_mad_u64_u32 v[0:1], null, v6, 24, v[10:11]
	v_and_b32_e32 v10, v7, v9
	s_delay_alu instid0(VALU_DEP_1) | instskip(NEXT) | instid1(VALU_DEP_1)
	v_mad_u64_u32 v[6:7], null, v10, 24, v[1:2]
	v_mov_b32_e32 v1, v6
	global_load_b64 v[6:7], v[0:1], off glc
	s_waitcnt vmcnt(0)
	global_atomic_cmpswap_b64 v[0:1], v5, v[6:9], s[4:5] offset:24 glc
	s_waitcnt vmcnt(0)
	buffer_gl1_inv
	buffer_gl0_inv
	v_cmp_eq_u64_e32 vcc_lo, v[0:1], v[8:9]
	s_or_b32 s7, vcc_lo, s7
	s_delay_alu instid0(SALU_CYCLE_1)
	s_and_not1_b32 exec_lo, exec_lo, s7
	s_cbranch_execnz .LBB4_244
; %bb.245:
	s_or_b32 exec_lo, exec_lo, s7
.LBB4_246:
	s_delay_alu instid0(SALU_CYCLE_1)
	s_or_b32 exec_lo, exec_lo, s6
.LBB4_247:
	s_delay_alu instid0(SALU_CYCLE_1)
	s_or_b32 exec_lo, exec_lo, s3
	s_waitcnt vmcnt(0)
	v_mov_b32_e32 v5, 0
	v_readfirstlane_b32 s6, v0
	v_readfirstlane_b32 s7, v1
	s_mov_b32 s3, exec_lo
	s_clause 0x1
	global_load_b64 v[11:12], v5, s[4:5] offset:40
	global_load_b128 v[7:10], v5, s[4:5]
	s_waitcnt vmcnt(1)
	v_readfirstlane_b32 s8, v11
	v_readfirstlane_b32 s9, v12
	s_delay_alu instid0(VALU_DEP_1) | instskip(NEXT) | instid1(SALU_CYCLE_1)
	s_and_b64 s[8:9], s[6:7], s[8:9]
	s_mul_i32 s10, s9, 24
	s_mul_hi_u32 s11, s8, 24
	s_mul_i32 s12, s8, 24
	s_add_i32 s11, s11, s10
	s_waitcnt vmcnt(0)
	v_add_co_u32 v0, vcc_lo, v7, s12
	v_add_co_ci_u32_e32 v1, vcc_lo, s11, v8, vcc_lo
	s_and_saveexec_b32 s10, s2
	s_cbranch_execz .LBB4_249
; %bb.248:
	v_dual_mov_b32 v11, s3 :: v_dual_mov_b32 v12, v5
	v_dual_mov_b32 v13, 2 :: v_dual_mov_b32 v14, 1
	global_store_b128 v[0:1], v[11:14], off offset:8
.LBB4_249:
	s_or_b32 exec_lo, exec_lo, s10
	s_lshl_b64 s[8:9], s[8:9], 12
	v_and_or_b32 v3, 0xffffff1f, v3, 32
	v_add_co_u32 v9, vcc_lo, v9, s8
	v_add_co_ci_u32_e32 v10, vcc_lo, s9, v10, vcc_lo
	s_mov_b32 s8, 0
	s_delay_alu instid0(VALU_DEP_2)
	v_readfirstlane_b32 s12, v9
	s_mov_b32 s11, s8
	v_add_co_u32 v9, vcc_lo, v9, v32
	s_mov_b32 s9, s8
	s_mov_b32 s10, s8
	v_mov_b32_e32 v6, v5
	v_readfirstlane_b32 s13, v10
	v_dual_mov_b32 v14, s11 :: v_dual_mov_b32 v11, s8
	v_add_co_ci_u32_e32 v10, vcc_lo, 0, v10, vcc_lo
	v_dual_mov_b32 v13, s10 :: v_dual_mov_b32 v12, s9
	s_clause 0x3
	global_store_b128 v32, v[3:6], s[12:13]
	global_store_b128 v32, v[11:14], s[12:13] offset:16
	global_store_b128 v32, v[11:14], s[12:13] offset:32
	;; [unrolled: 1-line block ×3, first 2 shown]
	s_and_saveexec_b32 s3, s2
	s_cbranch_execz .LBB4_257
; %bb.250:
	v_dual_mov_b32 v11, 0 :: v_dual_mov_b32 v12, s6
	v_mov_b32_e32 v13, s7
	s_clause 0x1
	global_load_b64 v[14:15], v11, s[4:5] offset:32 glc
	global_load_b64 v[3:4], v11, s[4:5] offset:40
	s_waitcnt vmcnt(0)
	v_readfirstlane_b32 s8, v3
	v_readfirstlane_b32 s9, v4
	s_delay_alu instid0(VALU_DEP_1) | instskip(NEXT) | instid1(SALU_CYCLE_1)
	s_and_b64 s[8:9], s[8:9], s[6:7]
	s_mul_i32 s9, s9, 24
	s_mul_hi_u32 s10, s8, 24
	s_mul_i32 s8, s8, 24
	s_add_i32 s10, s10, s9
	v_add_co_u32 v7, vcc_lo, v7, s8
	v_add_co_ci_u32_e32 v8, vcc_lo, s10, v8, vcc_lo
	s_mov_b32 s8, exec_lo
	global_store_b64 v[7:8], v[14:15], off
	s_waitcnt_vscnt null, 0x0
	global_atomic_cmpswap_b64 v[5:6], v11, v[12:15], s[4:5] offset:32 glc
	s_waitcnt vmcnt(0)
	v_cmpx_ne_u64_e64 v[5:6], v[14:15]
	s_cbranch_execz .LBB4_253
; %bb.251:
	s_mov_b32 s9, 0
.LBB4_252:                              ; =>This Inner Loop Header: Depth=1
	v_dual_mov_b32 v3, s6 :: v_dual_mov_b32 v4, s7
	s_sleep 1
	global_store_b64 v[7:8], v[5:6], off
	s_waitcnt_vscnt null, 0x0
	global_atomic_cmpswap_b64 v[3:4], v11, v[3:6], s[4:5] offset:32 glc
	s_waitcnt vmcnt(0)
	v_cmp_eq_u64_e32 vcc_lo, v[3:4], v[5:6]
	v_dual_mov_b32 v6, v4 :: v_dual_mov_b32 v5, v3
	s_or_b32 s9, vcc_lo, s9
	s_delay_alu instid0(SALU_CYCLE_1)
	s_and_not1_b32 exec_lo, exec_lo, s9
	s_cbranch_execnz .LBB4_252
.LBB4_253:
	s_or_b32 exec_lo, exec_lo, s8
	v_mov_b32_e32 v6, 0
	s_mov_b32 s9, exec_lo
	s_mov_b32 s8, exec_lo
	v_mbcnt_lo_u32_b32 v5, s9, 0
	global_load_b64 v[3:4], v6, s[4:5] offset:16
	v_cmpx_eq_u32_e32 0, v5
	s_cbranch_execz .LBB4_255
; %bb.254:
	s_bcnt1_i32_b32 s9, s9
	s_delay_alu instid0(SALU_CYCLE_1)
	v_mov_b32_e32 v5, s9
	s_waitcnt vmcnt(0)
	global_atomic_add_u64 v[3:4], v[5:6], off offset:8
.LBB4_255:
	s_or_b32 exec_lo, exec_lo, s8
	s_waitcnt vmcnt(0)
	global_load_b64 v[5:6], v[3:4], off offset:16
	s_waitcnt vmcnt(0)
	v_cmp_eq_u64_e32 vcc_lo, 0, v[5:6]
	s_cbranch_vccnz .LBB4_257
; %bb.256:
	global_load_b32 v3, v[3:4], off offset:24
	s_waitcnt vmcnt(0)
	v_dual_mov_b32 v4, 0 :: v_dual_and_b32 v7, 0xffffff, v3
	s_waitcnt_vscnt null, 0x0
	global_store_b64 v[5:6], v[3:4], off
	v_readfirstlane_b32 m0, v7
	s_sendmsg sendmsg(MSG_INTERRUPT)
.LBB4_257:
	s_or_b32 exec_lo, exec_lo, s3
	s_branch .LBB4_261
	.p2align	6
.LBB4_258:                              ;   in Loop: Header=BB4_261 Depth=1
	s_or_b32 exec_lo, exec_lo, s3
	s_delay_alu instid0(VALU_DEP_1) | instskip(NEXT) | instid1(VALU_DEP_1)
	v_readfirstlane_b32 s3, v3
	s_cmp_eq_u32 s3, 0
	s_cbranch_scc1 .LBB4_260
; %bb.259:                              ;   in Loop: Header=BB4_261 Depth=1
	s_sleep 1
	s_cbranch_execnz .LBB4_261
	s_branch .LBB4_263
	.p2align	6
.LBB4_260:
	s_branch .LBB4_263
.LBB4_261:                              ; =>This Inner Loop Header: Depth=1
	v_mov_b32_e32 v3, 1
	s_and_saveexec_b32 s3, s2
	s_cbranch_execz .LBB4_258
; %bb.262:                              ;   in Loop: Header=BB4_261 Depth=1
	global_load_b32 v3, v[0:1], off offset:20 glc
	s_waitcnt vmcnt(0)
	buffer_gl1_inv
	buffer_gl0_inv
	v_and_b32_e32 v3, 1, v3
	s_branch .LBB4_258
.LBB4_263:
	global_load_b64 v[5:6], v[9:10], off
	s_and_saveexec_b32 s3, s2
	s_cbranch_execz .LBB4_267
; %bb.264:
	v_mov_b32_e32 v3, 0
	s_clause 0x2
	global_load_b64 v[0:1], v3, s[4:5] offset:40
	global_load_b64 v[11:12], v3, s[4:5] offset:24 glc
	global_load_b64 v[9:10], v3, s[4:5]
	s_waitcnt vmcnt(2)
	v_add_co_u32 v4, vcc_lo, v0, 1
	v_add_co_ci_u32_e32 v13, vcc_lo, 0, v1, vcc_lo
	s_delay_alu instid0(VALU_DEP_2) | instskip(NEXT) | instid1(VALU_DEP_2)
	v_add_co_u32 v7, vcc_lo, v4, s6
	v_add_co_ci_u32_e32 v8, vcc_lo, s7, v13, vcc_lo
	s_delay_alu instid0(VALU_DEP_1) | instskip(SKIP_1) | instid1(VALU_DEP_1)
	v_cmp_eq_u64_e32 vcc_lo, 0, v[7:8]
	v_dual_cndmask_b32 v8, v8, v13 :: v_dual_cndmask_b32 v7, v7, v4
	v_and_b32_e32 v1, v8, v1
	s_delay_alu instid0(VALU_DEP_2) | instskip(NEXT) | instid1(VALU_DEP_2)
	v_and_b32_e32 v0, v7, v0
	v_mul_lo_u32 v1, v1, 24
	s_delay_alu instid0(VALU_DEP_2) | instskip(SKIP_1) | instid1(VALU_DEP_2)
	v_mul_hi_u32 v4, v0, 24
	v_mul_lo_u32 v0, v0, 24
	v_add_nc_u32_e32 v1, v4, v1
	s_waitcnt vmcnt(0)
	s_delay_alu instid0(VALU_DEP_2) | instskip(SKIP_1) | instid1(VALU_DEP_3)
	v_add_co_u32 v0, vcc_lo, v9, v0
	v_mov_b32_e32 v9, v11
	v_add_co_ci_u32_e32 v1, vcc_lo, v10, v1, vcc_lo
	v_mov_b32_e32 v10, v12
	global_store_b64 v[0:1], v[11:12], off
	s_waitcnt_vscnt null, 0x0
	global_atomic_cmpswap_b64 v[9:10], v3, v[7:10], s[4:5] offset:24 glc
	s_waitcnt vmcnt(0)
	v_cmp_ne_u64_e32 vcc_lo, v[9:10], v[11:12]
	s_and_b32 exec_lo, exec_lo, vcc_lo
	s_cbranch_execz .LBB4_267
; %bb.265:
	s_mov_b32 s2, 0
.LBB4_266:                              ; =>This Inner Loop Header: Depth=1
	s_sleep 1
	global_store_b64 v[0:1], v[9:10], off
	s_waitcnt_vscnt null, 0x0
	global_atomic_cmpswap_b64 v[11:12], v3, v[7:10], s[4:5] offset:24 glc
	s_waitcnt vmcnt(0)
	v_cmp_eq_u64_e32 vcc_lo, v[11:12], v[9:10]
	v_dual_mov_b32 v9, v11 :: v_dual_mov_b32 v10, v12
	s_or_b32 s2, vcc_lo, s2
	s_delay_alu instid0(SALU_CYCLE_1)
	s_and_not1_b32 exec_lo, exec_lo, s2
	s_cbranch_execnz .LBB4_266
.LBB4_267:
	s_or_b32 exec_lo, exec_lo, s3
.LBB4_268:
	v_readfirstlane_b32 s2, v33
	v_mov_b32_e32 v0, 0
	v_mov_b32_e32 v1, 0
	s_delay_alu instid0(VALU_DEP_3) | instskip(NEXT) | instid1(VALU_DEP_1)
	v_cmp_eq_u32_e64 s2, s2, v33
	s_and_saveexec_b32 s3, s2
	s_cbranch_execz .LBB4_274
; %bb.269:
	s_waitcnt vmcnt(0)
	v_mov_b32_e32 v3, 0
	s_mov_b32 s6, exec_lo
	global_load_b64 v[9:10], v3, s[4:5] offset:24 glc
	s_waitcnt vmcnt(0)
	buffer_gl1_inv
	buffer_gl0_inv
	s_clause 0x1
	global_load_b64 v[0:1], v3, s[4:5] offset:40
	global_load_b64 v[7:8], v3, s[4:5]
	s_waitcnt vmcnt(1)
	v_and_b32_e32 v0, v0, v9
	v_and_b32_e32 v1, v1, v10
	s_delay_alu instid0(VALU_DEP_2) | instskip(NEXT) | instid1(VALU_DEP_2)
	v_mul_hi_u32 v4, v0, 24
	v_mul_lo_u32 v1, v1, 24
	v_mul_lo_u32 v0, v0, 24
	s_delay_alu instid0(VALU_DEP_2) | instskip(SKIP_1) | instid1(VALU_DEP_2)
	v_add_nc_u32_e32 v1, v4, v1
	s_waitcnt vmcnt(0)
	v_add_co_u32 v0, vcc_lo, v7, v0
	s_delay_alu instid0(VALU_DEP_2)
	v_add_co_ci_u32_e32 v1, vcc_lo, v8, v1, vcc_lo
	global_load_b64 v[7:8], v[0:1], off glc
	s_waitcnt vmcnt(0)
	global_atomic_cmpswap_b64 v[0:1], v3, v[7:10], s[4:5] offset:24 glc
	s_waitcnt vmcnt(0)
	buffer_gl1_inv
	buffer_gl0_inv
	v_cmpx_ne_u64_e64 v[0:1], v[9:10]
	s_cbranch_execz .LBB4_273
; %bb.270:
	s_mov_b32 s7, 0
	.p2align	6
.LBB4_271:                              ; =>This Inner Loop Header: Depth=1
	s_sleep 1
	s_clause 0x1
	global_load_b64 v[7:8], v3, s[4:5] offset:40
	global_load_b64 v[11:12], v3, s[4:5]
	v_dual_mov_b32 v10, v1 :: v_dual_mov_b32 v9, v0
	s_waitcnt vmcnt(1)
	s_delay_alu instid0(VALU_DEP_1) | instskip(SKIP_1) | instid1(VALU_DEP_1)
	v_and_b32_e32 v4, v7, v9
	s_waitcnt vmcnt(0)
	v_mad_u64_u32 v[0:1], null, v4, 24, v[11:12]
	v_and_b32_e32 v4, v8, v10
	s_delay_alu instid0(VALU_DEP_1) | instskip(NEXT) | instid1(VALU_DEP_1)
	v_mad_u64_u32 v[7:8], null, v4, 24, v[1:2]
	v_mov_b32_e32 v1, v7
	global_load_b64 v[7:8], v[0:1], off glc
	s_waitcnt vmcnt(0)
	global_atomic_cmpswap_b64 v[0:1], v3, v[7:10], s[4:5] offset:24 glc
	s_waitcnt vmcnt(0)
	buffer_gl1_inv
	buffer_gl0_inv
	v_cmp_eq_u64_e32 vcc_lo, v[0:1], v[9:10]
	s_or_b32 s7, vcc_lo, s7
	s_delay_alu instid0(SALU_CYCLE_1)
	s_and_not1_b32 exec_lo, exec_lo, s7
	s_cbranch_execnz .LBB4_271
; %bb.272:
	s_or_b32 exec_lo, exec_lo, s7
.LBB4_273:
	s_delay_alu instid0(SALU_CYCLE_1)
	s_or_b32 exec_lo, exec_lo, s6
.LBB4_274:
	s_delay_alu instid0(SALU_CYCLE_1)
	s_or_b32 exec_lo, exec_lo, s3
	s_waitcnt vmcnt(0)
	v_mov_b32_e32 v8, 0
	v_readfirstlane_b32 s6, v0
	v_readfirstlane_b32 s7, v1
	s_mov_b32 s3, exec_lo
	s_clause 0x1
	global_load_b64 v[3:4], v8, s[4:5] offset:40
	global_load_b128 v[9:12], v8, s[4:5]
	s_waitcnt vmcnt(1)
	v_readfirstlane_b32 s8, v3
	v_readfirstlane_b32 s9, v4
	s_delay_alu instid0(VALU_DEP_1) | instskip(NEXT) | instid1(SALU_CYCLE_1)
	s_and_b64 s[8:9], s[6:7], s[8:9]
	s_mul_i32 s10, s9, 24
	s_mul_hi_u32 s11, s8, 24
	s_mul_i32 s12, s8, 24
	s_add_i32 s11, s11, s10
	s_waitcnt vmcnt(0)
	v_add_co_u32 v0, vcc_lo, v9, s12
	v_add_co_ci_u32_e32 v1, vcc_lo, s11, v10, vcc_lo
	s_and_saveexec_b32 s10, s2
	s_cbranch_execz .LBB4_276
; %bb.275:
	v_dual_mov_b32 v7, s3 :: v_dual_mov_b32 v16, 1
	v_dual_mov_b32 v15, 2 :: v_dual_mov_b32 v14, v8
	s_delay_alu instid0(VALU_DEP_2)
	v_mov_b32_e32 v13, v7
	global_store_b128 v[0:1], v[13:16], off offset:8
.LBB4_276:
	s_or_b32 exec_lo, exec_lo, s10
	s_lshl_b64 s[8:9], s[8:9], 12
	s_bcnt1_i32_b32 s3, s18
	v_add_co_u32 v3, vcc_lo, v11, s8
	v_add_co_ci_u32_e32 v4, vcc_lo, s9, v12, vcc_lo
	s_mov_b32 s8, 0
	s_delay_alu instid0(VALU_DEP_2)
	v_add_co_u32 v11, vcc_lo, v3, v32
	s_mov_b32 s11, s8
	s_mov_b32 s9, s8
	;; [unrolled: 1-line block ×3, first 2 shown]
	v_and_or_b32 v5, 0xffffff1f, v5, 32
	v_dual_mov_b32 v7, s3 :: v_dual_mov_b32 v16, s11
	v_readfirstlane_b32 s12, v3
	v_readfirstlane_b32 s13, v4
	v_add_co_ci_u32_e32 v12, vcc_lo, 0, v4, vcc_lo
	v_dual_mov_b32 v15, s10 :: v_dual_mov_b32 v14, s9
	v_mov_b32_e32 v13, s8
	s_clause 0x3
	global_store_b128 v32, v[5:8], s[12:13]
	global_store_b128 v32, v[13:16], s[12:13] offset:16
	global_store_b128 v32, v[13:16], s[12:13] offset:32
	;; [unrolled: 1-line block ×3, first 2 shown]
	s_and_saveexec_b32 s3, s2
	s_cbranch_execz .LBB4_284
; %bb.277:
	v_dual_mov_b32 v13, 0 :: v_dual_mov_b32 v14, s6
	v_mov_b32_e32 v15, s7
	s_clause 0x1
	global_load_b64 v[16:17], v13, s[4:5] offset:32 glc
	global_load_b64 v[3:4], v13, s[4:5] offset:40
	s_waitcnt vmcnt(0)
	v_readfirstlane_b32 s8, v3
	v_readfirstlane_b32 s9, v4
	s_delay_alu instid0(VALU_DEP_1) | instskip(NEXT) | instid1(SALU_CYCLE_1)
	s_and_b64 s[8:9], s[8:9], s[6:7]
	s_mul_i32 s9, s9, 24
	s_mul_hi_u32 s10, s8, 24
	s_mul_i32 s8, s8, 24
	s_add_i32 s10, s10, s9
	v_add_co_u32 v7, vcc_lo, v9, s8
	v_add_co_ci_u32_e32 v8, vcc_lo, s10, v10, vcc_lo
	s_mov_b32 s8, exec_lo
	global_store_b64 v[7:8], v[16:17], off
	s_waitcnt_vscnt null, 0x0
	global_atomic_cmpswap_b64 v[5:6], v13, v[14:17], s[4:5] offset:32 glc
	s_waitcnt vmcnt(0)
	v_cmpx_ne_u64_e64 v[5:6], v[16:17]
	s_cbranch_execz .LBB4_280
; %bb.278:
	s_mov_b32 s9, 0
.LBB4_279:                              ; =>This Inner Loop Header: Depth=1
	v_dual_mov_b32 v3, s6 :: v_dual_mov_b32 v4, s7
	s_sleep 1
	global_store_b64 v[7:8], v[5:6], off
	s_waitcnt_vscnt null, 0x0
	global_atomic_cmpswap_b64 v[3:4], v13, v[3:6], s[4:5] offset:32 glc
	s_waitcnt vmcnt(0)
	v_cmp_eq_u64_e32 vcc_lo, v[3:4], v[5:6]
	v_dual_mov_b32 v6, v4 :: v_dual_mov_b32 v5, v3
	s_or_b32 s9, vcc_lo, s9
	s_delay_alu instid0(SALU_CYCLE_1)
	s_and_not1_b32 exec_lo, exec_lo, s9
	s_cbranch_execnz .LBB4_279
.LBB4_280:
	s_or_b32 exec_lo, exec_lo, s8
	v_mov_b32_e32 v6, 0
	s_mov_b32 s9, exec_lo
	s_mov_b32 s8, exec_lo
	v_mbcnt_lo_u32_b32 v5, s9, 0
	global_load_b64 v[3:4], v6, s[4:5] offset:16
	v_cmpx_eq_u32_e32 0, v5
	s_cbranch_execz .LBB4_282
; %bb.281:
	s_bcnt1_i32_b32 s9, s9
	s_delay_alu instid0(SALU_CYCLE_1)
	v_mov_b32_e32 v5, s9
	s_waitcnt vmcnt(0)
	global_atomic_add_u64 v[3:4], v[5:6], off offset:8
.LBB4_282:
	s_or_b32 exec_lo, exec_lo, s8
	s_waitcnt vmcnt(0)
	global_load_b64 v[5:6], v[3:4], off offset:16
	s_waitcnt vmcnt(0)
	v_cmp_eq_u64_e32 vcc_lo, 0, v[5:6]
	s_cbranch_vccnz .LBB4_284
; %bb.283:
	global_load_b32 v3, v[3:4], off offset:24
	s_waitcnt vmcnt(0)
	v_dual_mov_b32 v4, 0 :: v_dual_and_b32 v7, 0xffffff, v3
	s_waitcnt_vscnt null, 0x0
	global_store_b64 v[5:6], v[3:4], off
	v_readfirstlane_b32 m0, v7
	s_sendmsg sendmsg(MSG_INTERRUPT)
.LBB4_284:
	s_or_b32 exec_lo, exec_lo, s3
	s_branch .LBB4_288
	.p2align	6
.LBB4_285:                              ;   in Loop: Header=BB4_288 Depth=1
	s_or_b32 exec_lo, exec_lo, s3
	s_delay_alu instid0(VALU_DEP_1) | instskip(NEXT) | instid1(VALU_DEP_1)
	v_readfirstlane_b32 s3, v3
	s_cmp_eq_u32 s3, 0
	s_cbranch_scc1 .LBB4_287
; %bb.286:                              ;   in Loop: Header=BB4_288 Depth=1
	s_sleep 1
	s_cbranch_execnz .LBB4_288
	s_branch .LBB4_290
	.p2align	6
.LBB4_287:
	s_branch .LBB4_290
.LBB4_288:                              ; =>This Inner Loop Header: Depth=1
	v_mov_b32_e32 v3, 1
	s_and_saveexec_b32 s3, s2
	s_cbranch_execz .LBB4_285
; %bb.289:                              ;   in Loop: Header=BB4_288 Depth=1
	global_load_b32 v3, v[0:1], off offset:20 glc
	s_waitcnt vmcnt(0)
	buffer_gl1_inv
	buffer_gl0_inv
	v_and_b32_e32 v3, 1, v3
	s_branch .LBB4_285
.LBB4_290:
	global_load_b64 v[0:1], v[11:12], off
	s_and_saveexec_b32 s3, s2
	s_cbranch_execz .LBB4_294
; %bb.291:
	v_mov_b32_e32 v9, 0
	s_clause 0x2
	global_load_b64 v[5:6], v9, s[4:5] offset:40
	global_load_b64 v[10:11], v9, s[4:5] offset:24 glc
	global_load_b64 v[7:8], v9, s[4:5]
	s_waitcnt vmcnt(2)
	v_add_co_u32 v12, vcc_lo, v5, 1
	v_add_co_ci_u32_e32 v13, vcc_lo, 0, v6, vcc_lo
	s_delay_alu instid0(VALU_DEP_2) | instskip(NEXT) | instid1(VALU_DEP_2)
	v_add_co_u32 v3, vcc_lo, v12, s6
	v_add_co_ci_u32_e32 v4, vcc_lo, s7, v13, vcc_lo
	s_delay_alu instid0(VALU_DEP_1) | instskip(SKIP_1) | instid1(VALU_DEP_1)
	v_cmp_eq_u64_e32 vcc_lo, 0, v[3:4]
	v_dual_cndmask_b32 v4, v4, v13 :: v_dual_cndmask_b32 v3, v3, v12
	v_and_b32_e32 v6, v4, v6
	s_delay_alu instid0(VALU_DEP_2) | instskip(NEXT) | instid1(VALU_DEP_2)
	v_and_b32_e32 v5, v3, v5
	v_mul_lo_u32 v6, v6, 24
	s_delay_alu instid0(VALU_DEP_2) | instskip(SKIP_1) | instid1(VALU_DEP_2)
	v_mul_hi_u32 v12, v5, 24
	v_mul_lo_u32 v5, v5, 24
	v_add_nc_u32_e32 v6, v12, v6
	s_waitcnt vmcnt(0)
	s_delay_alu instid0(VALU_DEP_2) | instskip(SKIP_1) | instid1(VALU_DEP_3)
	v_add_co_u32 v7, vcc_lo, v7, v5
	v_mov_b32_e32 v5, v10
	v_add_co_ci_u32_e32 v8, vcc_lo, v8, v6, vcc_lo
	v_mov_b32_e32 v6, v11
	global_store_b64 v[7:8], v[10:11], off
	s_waitcnt_vscnt null, 0x0
	global_atomic_cmpswap_b64 v[5:6], v9, v[3:6], s[4:5] offset:24 glc
	s_waitcnt vmcnt(0)
	v_cmp_ne_u64_e32 vcc_lo, v[5:6], v[10:11]
	s_and_b32 exec_lo, exec_lo, vcc_lo
	s_cbranch_execz .LBB4_294
; %bb.292:
	s_mov_b32 s2, 0
.LBB4_293:                              ; =>This Inner Loop Header: Depth=1
	s_sleep 1
	global_store_b64 v[7:8], v[5:6], off
	s_waitcnt_vscnt null, 0x0
	global_atomic_cmpswap_b64 v[10:11], v9, v[3:6], s[4:5] offset:24 glc
	s_waitcnt vmcnt(0)
	v_cmp_eq_u64_e32 vcc_lo, v[10:11], v[5:6]
	v_dual_mov_b32 v5, v10 :: v_dual_mov_b32 v6, v11
	s_or_b32 s2, vcc_lo, s2
	s_delay_alu instid0(SALU_CYCLE_1)
	s_and_not1_b32 exec_lo, exec_lo, s2
	s_cbranch_execnz .LBB4_293
.LBB4_294:
	s_or_b32 exec_lo, exec_lo, s3
	v_readfirstlane_b32 s2, v33
	v_mov_b32_e32 v8, 0
	v_mov_b32_e32 v9, 0
	s_delay_alu instid0(VALU_DEP_3) | instskip(NEXT) | instid1(VALU_DEP_1)
	v_cmp_eq_u32_e64 s2, s2, v33
	s_and_saveexec_b32 s3, s2
	s_cbranch_execz .LBB4_300
; %bb.295:
	v_mov_b32_e32 v3, 0
	s_mov_b32 s6, exec_lo
	global_load_b64 v[6:7], v3, s[4:5] offset:24 glc
	s_waitcnt vmcnt(0)
	buffer_gl1_inv
	buffer_gl0_inv
	s_clause 0x1
	global_load_b64 v[4:5], v3, s[4:5] offset:40
	global_load_b64 v[8:9], v3, s[4:5]
	s_waitcnt vmcnt(1)
	v_and_b32_e32 v4, v4, v6
	v_and_b32_e32 v5, v5, v7
	s_delay_alu instid0(VALU_DEP_2) | instskip(NEXT) | instid1(VALU_DEP_2)
	v_mul_hi_u32 v10, v4, 24
	v_mul_lo_u32 v5, v5, 24
	v_mul_lo_u32 v4, v4, 24
	s_delay_alu instid0(VALU_DEP_2) | instskip(SKIP_1) | instid1(VALU_DEP_2)
	v_add_nc_u32_e32 v5, v10, v5
	s_waitcnt vmcnt(0)
	v_add_co_u32 v4, vcc_lo, v8, v4
	s_delay_alu instid0(VALU_DEP_2)
	v_add_co_ci_u32_e32 v5, vcc_lo, v9, v5, vcc_lo
	global_load_b64 v[4:5], v[4:5], off glc
	s_waitcnt vmcnt(0)
	global_atomic_cmpswap_b64 v[8:9], v3, v[4:7], s[4:5] offset:24 glc
	s_waitcnt vmcnt(0)
	buffer_gl1_inv
	buffer_gl0_inv
	v_cmpx_ne_u64_e64 v[8:9], v[6:7]
	s_cbranch_execz .LBB4_299
; %bb.296:
	s_mov_b32 s7, 0
	.p2align	6
.LBB4_297:                              ; =>This Inner Loop Header: Depth=1
	s_sleep 1
	s_clause 0x1
	global_load_b64 v[4:5], v3, s[4:5] offset:40
	global_load_b64 v[10:11], v3, s[4:5]
	v_dual_mov_b32 v6, v8 :: v_dual_mov_b32 v7, v9
	s_waitcnt vmcnt(1)
	s_delay_alu instid0(VALU_DEP_1) | instskip(NEXT) | instid1(VALU_DEP_2)
	v_and_b32_e32 v4, v4, v6
	v_and_b32_e32 v5, v5, v7
	s_waitcnt vmcnt(0)
	s_delay_alu instid0(VALU_DEP_2) | instskip(NEXT) | instid1(VALU_DEP_1)
	v_mad_u64_u32 v[8:9], null, v4, 24, v[10:11]
	v_mov_b32_e32 v4, v9
	s_delay_alu instid0(VALU_DEP_1)
	v_mad_u64_u32 v[9:10], null, v5, 24, v[4:5]
	global_load_b64 v[4:5], v[8:9], off glc
	s_waitcnt vmcnt(0)
	global_atomic_cmpswap_b64 v[8:9], v3, v[4:7], s[4:5] offset:24 glc
	s_waitcnt vmcnt(0)
	buffer_gl1_inv
	buffer_gl0_inv
	v_cmp_eq_u64_e32 vcc_lo, v[8:9], v[6:7]
	s_or_b32 s7, vcc_lo, s7
	s_delay_alu instid0(SALU_CYCLE_1)
	s_and_not1_b32 exec_lo, exec_lo, s7
	s_cbranch_execnz .LBB4_297
; %bb.298:
	s_or_b32 exec_lo, exec_lo, s7
.LBB4_299:
	s_delay_alu instid0(SALU_CYCLE_1)
	s_or_b32 exec_lo, exec_lo, s6
.LBB4_300:
	s_delay_alu instid0(SALU_CYCLE_1)
	s_or_b32 exec_lo, exec_lo, s3
	v_mov_b32_e32 v3, 0
	v_readfirstlane_b32 s6, v8
	v_readfirstlane_b32 s7, v9
	s_mov_b32 s3, exec_lo
	s_clause 0x1
	global_load_b64 v[10:11], v3, s[4:5] offset:40
	global_load_b128 v[4:7], v3, s[4:5]
	s_waitcnt vmcnt(1)
	v_readfirstlane_b32 s8, v10
	v_readfirstlane_b32 s9, v11
	s_delay_alu instid0(VALU_DEP_1) | instskip(NEXT) | instid1(SALU_CYCLE_1)
	s_and_b64 s[8:9], s[6:7], s[8:9]
	s_mul_i32 s10, s9, 24
	s_mul_hi_u32 s11, s8, 24
	s_mul_i32 s12, s8, 24
	s_add_i32 s11, s11, s10
	s_waitcnt vmcnt(0)
	v_add_co_u32 v8, vcc_lo, v4, s12
	v_add_co_ci_u32_e32 v9, vcc_lo, s11, v5, vcc_lo
	s_and_saveexec_b32 s10, s2
	s_cbranch_execz .LBB4_302
; %bb.301:
	v_dual_mov_b32 v10, s3 :: v_dual_mov_b32 v11, v3
	v_dual_mov_b32 v12, 2 :: v_dual_mov_b32 v13, 1
	global_store_b128 v[8:9], v[10:13], off offset:8
.LBB4_302:
	s_or_b32 exec_lo, exec_lo, s10
	s_lshl_b64 s[8:9], s[8:9], 12
	v_and_or_b32 v0, 0xffffff1d, v0, 34
	v_add_co_u32 v6, vcc_lo, v6, s8
	v_add_co_ci_u32_e32 v7, vcc_lo, s9, v7, vcc_lo
	s_mov_b32 s8, 0
	s_delay_alu instid0(VALU_DEP_2)
	v_readfirstlane_b32 s12, v6
	s_mov_b32 s11, s8
	s_mov_b32 s9, s8
	;; [unrolled: 1-line block ×3, first 2 shown]
	v_readfirstlane_b32 s13, v7
	v_dual_mov_b32 v13, s11 :: v_dual_mov_b32 v12, s10
	v_dual_mov_b32 v11, s9 :: v_dual_mov_b32 v10, s8
	s_clause 0x3
	global_store_b128 v32, v[0:3], s[12:13]
	global_store_b128 v32, v[10:13], s[12:13] offset:16
	global_store_b128 v32, v[10:13], s[12:13] offset:32
	;; [unrolled: 1-line block ×3, first 2 shown]
	s_and_saveexec_b32 s3, s2
	s_cbranch_execz .LBB4_310
; %bb.303:
	v_dual_mov_b32 v6, 0 :: v_dual_mov_b32 v11, s7
	v_mov_b32_e32 v10, s6
	s_clause 0x1
	global_load_b64 v[12:13], v6, s[4:5] offset:32 glc
	global_load_b64 v[0:1], v6, s[4:5] offset:40
	s_waitcnt vmcnt(0)
	v_readfirstlane_b32 s8, v0
	v_readfirstlane_b32 s9, v1
	s_delay_alu instid0(VALU_DEP_1) | instskip(NEXT) | instid1(SALU_CYCLE_1)
	s_and_b64 s[8:9], s[8:9], s[6:7]
	s_mul_i32 s9, s9, 24
	s_mul_hi_u32 s10, s8, 24
	s_mul_i32 s8, s8, 24
	s_add_i32 s10, s10, s9
	v_add_co_u32 v4, vcc_lo, v4, s8
	v_add_co_ci_u32_e32 v5, vcc_lo, s10, v5, vcc_lo
	s_mov_b32 s8, exec_lo
	global_store_b64 v[4:5], v[12:13], off
	s_waitcnt_vscnt null, 0x0
	global_atomic_cmpswap_b64 v[2:3], v6, v[10:13], s[4:5] offset:32 glc
	s_waitcnt vmcnt(0)
	v_cmpx_ne_u64_e64 v[2:3], v[12:13]
	s_cbranch_execz .LBB4_306
; %bb.304:
	s_mov_b32 s9, 0
.LBB4_305:                              ; =>This Inner Loop Header: Depth=1
	v_dual_mov_b32 v0, s6 :: v_dual_mov_b32 v1, s7
	s_sleep 1
	global_store_b64 v[4:5], v[2:3], off
	s_waitcnt_vscnt null, 0x0
	global_atomic_cmpswap_b64 v[0:1], v6, v[0:3], s[4:5] offset:32 glc
	s_waitcnt vmcnt(0)
	v_cmp_eq_u64_e32 vcc_lo, v[0:1], v[2:3]
	v_dual_mov_b32 v3, v1 :: v_dual_mov_b32 v2, v0
	s_or_b32 s9, vcc_lo, s9
	s_delay_alu instid0(SALU_CYCLE_1)
	s_and_not1_b32 exec_lo, exec_lo, s9
	s_cbranch_execnz .LBB4_305
.LBB4_306:
	s_or_b32 exec_lo, exec_lo, s8
	v_mov_b32_e32 v3, 0
	s_mov_b32 s9, exec_lo
	s_mov_b32 s8, exec_lo
	v_mbcnt_lo_u32_b32 v2, s9, 0
	global_load_b64 v[0:1], v3, s[4:5] offset:16
	v_cmpx_eq_u32_e32 0, v2
	s_cbranch_execz .LBB4_308
; %bb.307:
	s_bcnt1_i32_b32 s9, s9
	s_delay_alu instid0(SALU_CYCLE_1)
	v_mov_b32_e32 v2, s9
	s_waitcnt vmcnt(0)
	global_atomic_add_u64 v[0:1], v[2:3], off offset:8
.LBB4_308:
	s_or_b32 exec_lo, exec_lo, s8
	s_waitcnt vmcnt(0)
	global_load_b64 v[2:3], v[0:1], off offset:16
	s_waitcnt vmcnt(0)
	v_cmp_eq_u64_e32 vcc_lo, 0, v[2:3]
	s_cbranch_vccnz .LBB4_310
; %bb.309:
	global_load_b32 v0, v[0:1], off offset:24
	s_waitcnt vmcnt(0)
	v_dual_mov_b32 v1, 0 :: v_dual_and_b32 v4, 0xffffff, v0
	s_waitcnt_vscnt null, 0x0
	global_store_b64 v[2:3], v[0:1], off
	v_readfirstlane_b32 m0, v4
	s_sendmsg sendmsg(MSG_INTERRUPT)
.LBB4_310:
	s_or_b32 exec_lo, exec_lo, s3
	s_branch .LBB4_314
	.p2align	6
.LBB4_311:                              ;   in Loop: Header=BB4_314 Depth=1
	s_or_b32 exec_lo, exec_lo, s3
	s_delay_alu instid0(VALU_DEP_1) | instskip(NEXT) | instid1(VALU_DEP_1)
	v_readfirstlane_b32 s3, v0
	s_cmp_eq_u32 s3, 0
	s_cbranch_scc1 .LBB4_313
; %bb.312:                              ;   in Loop: Header=BB4_314 Depth=1
	s_sleep 1
	s_cbranch_execnz .LBB4_314
	s_branch .LBB4_316
	.p2align	6
.LBB4_313:
	s_branch .LBB4_316
.LBB4_314:                              ; =>This Inner Loop Header: Depth=1
	v_mov_b32_e32 v0, 1
	s_and_saveexec_b32 s3, s2
	s_cbranch_execz .LBB4_311
; %bb.315:                              ;   in Loop: Header=BB4_314 Depth=1
	global_load_b32 v0, v[8:9], off offset:20 glc
	s_waitcnt vmcnt(0)
	buffer_gl1_inv
	buffer_gl0_inv
	v_and_b32_e32 v0, 1, v0
	s_branch .LBB4_311
.LBB4_316:
	s_and_b32 exec_lo, exec_lo, s2
	s_cbranch_execz .LBB4_320
; %bb.317:
	v_mov_b32_e32 v6, 0
	s_clause 0x2
	global_load_b64 v[2:3], v6, s[4:5] offset:40
	global_load_b64 v[7:8], v6, s[4:5] offset:24 glc
	global_load_b64 v[4:5], v6, s[4:5]
	s_waitcnt vmcnt(2)
	v_add_co_u32 v9, vcc_lo, v2, 1
	v_add_co_ci_u32_e32 v10, vcc_lo, 0, v3, vcc_lo
	s_delay_alu instid0(VALU_DEP_2) | instskip(NEXT) | instid1(VALU_DEP_2)
	v_add_co_u32 v0, vcc_lo, v9, s6
	v_add_co_ci_u32_e32 v1, vcc_lo, s7, v10, vcc_lo
	s_delay_alu instid0(VALU_DEP_1) | instskip(SKIP_1) | instid1(VALU_DEP_1)
	v_cmp_eq_u64_e32 vcc_lo, 0, v[0:1]
	v_dual_cndmask_b32 v1, v1, v10 :: v_dual_cndmask_b32 v0, v0, v9
	v_and_b32_e32 v3, v1, v3
	s_delay_alu instid0(VALU_DEP_2) | instskip(NEXT) | instid1(VALU_DEP_2)
	v_and_b32_e32 v2, v0, v2
	v_mul_lo_u32 v3, v3, 24
	s_delay_alu instid0(VALU_DEP_2) | instskip(SKIP_1) | instid1(VALU_DEP_2)
	v_mul_hi_u32 v9, v2, 24
	v_mul_lo_u32 v2, v2, 24
	v_add_nc_u32_e32 v3, v9, v3
	s_waitcnt vmcnt(0)
	s_delay_alu instid0(VALU_DEP_2) | instskip(SKIP_1) | instid1(VALU_DEP_3)
	v_add_co_u32 v4, vcc_lo, v4, v2
	v_mov_b32_e32 v2, v7
	v_add_co_ci_u32_e32 v5, vcc_lo, v5, v3, vcc_lo
	v_mov_b32_e32 v3, v8
	global_store_b64 v[4:5], v[7:8], off
	s_waitcnt_vscnt null, 0x0
	global_atomic_cmpswap_b64 v[2:3], v6, v[0:3], s[4:5] offset:24 glc
	s_waitcnt vmcnt(0)
	v_cmp_ne_u64_e32 vcc_lo, v[2:3], v[7:8]
	s_and_b32 exec_lo, exec_lo, vcc_lo
	s_cbranch_execz .LBB4_320
; %bb.318:
	s_mov_b32 s2, 0
.LBB4_319:                              ; =>This Inner Loop Header: Depth=1
	s_sleep 1
	global_store_b64 v[4:5], v[2:3], off
	s_waitcnt_vscnt null, 0x0
	global_atomic_cmpswap_b64 v[7:8], v6, v[0:3], s[4:5] offset:24 glc
	s_waitcnt vmcnt(0)
	v_cmp_eq_u64_e32 vcc_lo, v[7:8], v[2:3]
	v_dual_mov_b32 v2, v7 :: v_dual_mov_b32 v3, v8
	s_or_b32 s2, vcc_lo, s2
	s_delay_alu instid0(SALU_CYCLE_1)
	s_and_not1_b32 exec_lo, exec_lo, s2
	s_cbranch_execnz .LBB4_319
.LBB4_320:
	s_or_b32 exec_lo, exec_lo, s17
                                        ; implicit-def: $vgpr2_vgpr3
.LBB4_321:
	s_and_not1_saveexec_b32 s2, s16
	s_cbranch_execz .LBB4_508
; %bb.322:
	s_mov_b32 s14, exec_lo
	s_mov_b32 s2, exec_lo
	v_mbcnt_lo_u32_b32 v0, s14, 0
	s_delay_alu instid0(VALU_DEP_1)
	v_cmpx_eq_u32_e32 0, v0
	s_cbranch_execz .LBB4_508
; %bb.323:
	s_load_b64 s[2:3], s[0:1], 0x50
	v_mbcnt_lo_u32_b32 v33, -1, 0
	v_mov_b32_e32 v0, 0
	v_mov_b32_e32 v1, 0
	s_delay_alu instid0(VALU_DEP_3) | instskip(NEXT) | instid1(VALU_DEP_1)
	v_readfirstlane_b32 s0, v33
	v_cmp_eq_u32_e64 s0, s0, v33
	s_delay_alu instid0(VALU_DEP_1)
	s_and_saveexec_b32 s1, s0
	s_cbranch_execz .LBB4_329
; %bb.324:
	v_mov_b32_e32 v3, 0
	s_mov_b32 s4, exec_lo
	s_waitcnt lgkmcnt(0)
	global_load_b64 v[6:7], v3, s[2:3] offset:24 glc
	s_waitcnt vmcnt(0)
	buffer_gl1_inv
	buffer_gl0_inv
	s_clause 0x1
	global_load_b64 v[0:1], v3, s[2:3] offset:40
	global_load_b64 v[4:5], v3, s[2:3]
	s_waitcnt vmcnt(1)
	v_and_b32_e32 v0, v0, v6
	v_and_b32_e32 v1, v1, v7
	s_delay_alu instid0(VALU_DEP_2) | instskip(NEXT) | instid1(VALU_DEP_2)
	v_mul_hi_u32 v8, v0, 24
	v_mul_lo_u32 v1, v1, 24
	v_mul_lo_u32 v0, v0, 24
	s_delay_alu instid0(VALU_DEP_2) | instskip(SKIP_1) | instid1(VALU_DEP_2)
	v_add_nc_u32_e32 v1, v8, v1
	s_waitcnt vmcnt(0)
	v_add_co_u32 v0, vcc_lo, v4, v0
	s_delay_alu instid0(VALU_DEP_2)
	v_add_co_ci_u32_e32 v1, vcc_lo, v5, v1, vcc_lo
	global_load_b64 v[4:5], v[0:1], off glc
	s_waitcnt vmcnt(0)
	global_atomic_cmpswap_b64 v[0:1], v3, v[4:7], s[2:3] offset:24 glc
	s_waitcnt vmcnt(0)
	buffer_gl1_inv
	buffer_gl0_inv
	v_cmpx_ne_u64_e64 v[0:1], v[6:7]
	s_cbranch_execz .LBB4_328
; %bb.325:
	s_mov_b32 s5, 0
	.p2align	6
.LBB4_326:                              ; =>This Inner Loop Header: Depth=1
	s_sleep 1
	s_clause 0x1
	global_load_b64 v[4:5], v3, s[2:3] offset:40
	global_load_b64 v[8:9], v3, s[2:3]
	v_dual_mov_b32 v7, v1 :: v_dual_mov_b32 v6, v0
	s_waitcnt vmcnt(1)
	s_delay_alu instid0(VALU_DEP_1) | instskip(SKIP_1) | instid1(VALU_DEP_1)
	v_and_b32_e32 v4, v4, v6
	s_waitcnt vmcnt(0)
	v_mad_u64_u32 v[0:1], null, v4, 24, v[8:9]
	v_and_b32_e32 v8, v5, v7
	s_delay_alu instid0(VALU_DEP_1) | instskip(NEXT) | instid1(VALU_DEP_1)
	v_mad_u64_u32 v[4:5], null, v8, 24, v[1:2]
	v_mov_b32_e32 v1, v4
	global_load_b64 v[4:5], v[0:1], off glc
	s_waitcnt vmcnt(0)
	global_atomic_cmpswap_b64 v[0:1], v3, v[4:7], s[2:3] offset:24 glc
	s_waitcnt vmcnt(0)
	buffer_gl1_inv
	buffer_gl0_inv
	v_cmp_eq_u64_e32 vcc_lo, v[0:1], v[6:7]
	s_or_b32 s5, vcc_lo, s5
	s_delay_alu instid0(SALU_CYCLE_1)
	s_and_not1_b32 exec_lo, exec_lo, s5
	s_cbranch_execnz .LBB4_326
; %bb.327:
	s_or_b32 exec_lo, exec_lo, s5
.LBB4_328:
	s_delay_alu instid0(SALU_CYCLE_1)
	s_or_b32 exec_lo, exec_lo, s4
.LBB4_329:
	s_delay_alu instid0(SALU_CYCLE_1)
	s_or_b32 exec_lo, exec_lo, s1
	v_mov_b32_e32 v8, 0
	v_readfirstlane_b32 s4, v0
	v_readfirstlane_b32 s5, v1
	s_mov_b32 s1, exec_lo
	s_waitcnt lgkmcnt(0)
	s_clause 0x1
	global_load_b64 v[9:10], v8, s[2:3] offset:40
	global_load_b128 v[3:6], v8, s[2:3]
	s_waitcnt vmcnt(1)
	v_readfirstlane_b32 s6, v9
	v_readfirstlane_b32 s7, v10
	s_delay_alu instid0(VALU_DEP_1) | instskip(NEXT) | instid1(SALU_CYCLE_1)
	s_and_b64 s[6:7], s[4:5], s[6:7]
	s_mul_i32 s8, s7, 24
	s_mul_hi_u32 s9, s6, 24
	s_mul_i32 s10, s6, 24
	s_add_i32 s9, s9, s8
	s_waitcnt vmcnt(0)
	v_add_co_u32 v0, vcc_lo, v3, s10
	v_add_co_ci_u32_e32 v1, vcc_lo, s9, v4, vcc_lo
	s_and_saveexec_b32 s8, s0
	s_cbranch_execz .LBB4_331
; %bb.330:
	v_dual_mov_b32 v7, s1 :: v_dual_mov_b32 v10, 1
	v_mov_b32_e32 v9, 2
	global_store_b128 v[0:1], v[7:10], off offset:8
.LBB4_331:
	s_or_b32 exec_lo, exec_lo, s8
	s_lshl_b64 s[6:7], s[6:7], 12
	v_dual_mov_b32 v7, 33 :: v_dual_lshlrev_b32 v32, 6, v33
	v_add_co_u32 v5, vcc_lo, v5, s6
	v_add_co_ci_u32_e32 v6, vcc_lo, s7, v6, vcc_lo
	s_mov_b32 s8, 0
	s_delay_alu instid0(VALU_DEP_2)
	v_add_co_u32 v11, vcc_lo, v5, v32
	s_mov_b32 s11, s8
	s_mov_b32 s9, s8
	;; [unrolled: 1-line block ×3, first 2 shown]
	v_dual_mov_b32 v9, v8 :: v_dual_mov_b32 v16, s11
	v_dual_mov_b32 v10, v8 :: v_dual_mov_b32 v15, s10
	v_readfirstlane_b32 s6, v5
	v_readfirstlane_b32 s7, v6
	v_add_co_ci_u32_e32 v12, vcc_lo, 0, v6, vcc_lo
	v_dual_mov_b32 v14, s9 :: v_dual_mov_b32 v13, s8
	s_clause 0x3
	global_store_b128 v32, v[7:10], s[6:7]
	global_store_b128 v32, v[13:16], s[6:7] offset:16
	global_store_b128 v32, v[13:16], s[6:7] offset:32
	;; [unrolled: 1-line block ×3, first 2 shown]
	s_and_saveexec_b32 s1, s0
	s_cbranch_execz .LBB4_339
; %bb.332:
	v_mov_b32_e32 v9, 0
	s_mov_b32 s6, exec_lo
	s_clause 0x1
	global_load_b64 v[15:16], v9, s[2:3] offset:32 glc
	global_load_b64 v[5:6], v9, s[2:3] offset:40
	v_dual_mov_b32 v14, s5 :: v_dual_mov_b32 v13, s4
	s_waitcnt vmcnt(0)
	v_and_b32_e32 v6, s5, v6
	v_and_b32_e32 v5, s4, v5
	s_delay_alu instid0(VALU_DEP_2) | instskip(NEXT) | instid1(VALU_DEP_2)
	v_mul_lo_u32 v6, v6, 24
	v_mul_hi_u32 v7, v5, 24
	v_mul_lo_u32 v5, v5, 24
	s_delay_alu instid0(VALU_DEP_2) | instskip(NEXT) | instid1(VALU_DEP_2)
	v_add_nc_u32_e32 v6, v7, v6
	v_add_co_u32 v7, vcc_lo, v3, v5
	s_delay_alu instid0(VALU_DEP_2)
	v_add_co_ci_u32_e32 v8, vcc_lo, v4, v6, vcc_lo
	global_store_b64 v[7:8], v[15:16], off
	s_waitcnt_vscnt null, 0x0
	global_atomic_cmpswap_b64 v[5:6], v9, v[13:16], s[2:3] offset:32 glc
	s_waitcnt vmcnt(0)
	v_cmpx_ne_u64_e64 v[5:6], v[15:16]
	s_cbranch_execz .LBB4_335
; %bb.333:
	s_mov_b32 s7, 0
.LBB4_334:                              ; =>This Inner Loop Header: Depth=1
	v_dual_mov_b32 v3, s4 :: v_dual_mov_b32 v4, s5
	s_sleep 1
	global_store_b64 v[7:8], v[5:6], off
	s_waitcnt_vscnt null, 0x0
	global_atomic_cmpswap_b64 v[3:4], v9, v[3:6], s[2:3] offset:32 glc
	s_waitcnt vmcnt(0)
	v_cmp_eq_u64_e32 vcc_lo, v[3:4], v[5:6]
	v_dual_mov_b32 v6, v4 :: v_dual_mov_b32 v5, v3
	s_or_b32 s7, vcc_lo, s7
	s_delay_alu instid0(SALU_CYCLE_1)
	s_and_not1_b32 exec_lo, exec_lo, s7
	s_cbranch_execnz .LBB4_334
.LBB4_335:
	s_or_b32 exec_lo, exec_lo, s6
	v_mov_b32_e32 v6, 0
	s_mov_b32 s7, exec_lo
	s_mov_b32 s6, exec_lo
	v_mbcnt_lo_u32_b32 v5, s7, 0
	global_load_b64 v[3:4], v6, s[2:3] offset:16
	v_cmpx_eq_u32_e32 0, v5
	s_cbranch_execz .LBB4_337
; %bb.336:
	s_bcnt1_i32_b32 s7, s7
	s_delay_alu instid0(SALU_CYCLE_1)
	v_mov_b32_e32 v5, s7
	s_waitcnt vmcnt(0)
	global_atomic_add_u64 v[3:4], v[5:6], off offset:8
.LBB4_337:
	s_or_b32 exec_lo, exec_lo, s6
	s_waitcnt vmcnt(0)
	global_load_b64 v[5:6], v[3:4], off offset:16
	s_waitcnt vmcnt(0)
	v_cmp_eq_u64_e32 vcc_lo, 0, v[5:6]
	s_cbranch_vccnz .LBB4_339
; %bb.338:
	global_load_b32 v3, v[3:4], off offset:24
	s_waitcnt vmcnt(0)
	v_dual_mov_b32 v4, 0 :: v_dual_and_b32 v7, 0xffffff, v3
	s_waitcnt_vscnt null, 0x0
	global_store_b64 v[5:6], v[3:4], off
	v_readfirstlane_b32 m0, v7
	s_sendmsg sendmsg(MSG_INTERRUPT)
.LBB4_339:
	s_or_b32 exec_lo, exec_lo, s1
	s_branch .LBB4_343
	.p2align	6
.LBB4_340:                              ;   in Loop: Header=BB4_343 Depth=1
	s_or_b32 exec_lo, exec_lo, s1
	s_delay_alu instid0(VALU_DEP_1) | instskip(NEXT) | instid1(VALU_DEP_1)
	v_readfirstlane_b32 s1, v3
	s_cmp_eq_u32 s1, 0
	s_cbranch_scc1 .LBB4_342
; %bb.341:                              ;   in Loop: Header=BB4_343 Depth=1
	s_sleep 1
	s_cbranch_execnz .LBB4_343
	s_branch .LBB4_345
	.p2align	6
.LBB4_342:
	s_branch .LBB4_345
.LBB4_343:                              ; =>This Inner Loop Header: Depth=1
	v_mov_b32_e32 v3, 1
	s_and_saveexec_b32 s1, s0
	s_cbranch_execz .LBB4_340
; %bb.344:                              ;   in Loop: Header=BB4_343 Depth=1
	global_load_b32 v3, v[0:1], off offset:20 glc
	s_waitcnt vmcnt(0)
	buffer_gl1_inv
	buffer_gl0_inv
	v_and_b32_e32 v3, 1, v3
	s_branch .LBB4_340
.LBB4_345:
	global_load_b64 v[3:4], v[11:12], off
	s_and_saveexec_b32 s1, s0
	s_cbranch_execz .LBB4_349
; %bb.346:
	v_mov_b32_e32 v9, 0
	s_clause 0x2
	global_load_b64 v[0:1], v9, s[2:3] offset:40
	global_load_b64 v[10:11], v9, s[2:3] offset:24 glc
	global_load_b64 v[7:8], v9, s[2:3]
	s_waitcnt vmcnt(2)
	v_add_co_u32 v12, vcc_lo, v0, 1
	v_add_co_ci_u32_e32 v13, vcc_lo, 0, v1, vcc_lo
	s_delay_alu instid0(VALU_DEP_2) | instskip(NEXT) | instid1(VALU_DEP_2)
	v_add_co_u32 v5, vcc_lo, v12, s4
	v_add_co_ci_u32_e32 v6, vcc_lo, s5, v13, vcc_lo
	s_delay_alu instid0(VALU_DEP_1) | instskip(SKIP_1) | instid1(VALU_DEP_1)
	v_cmp_eq_u64_e32 vcc_lo, 0, v[5:6]
	v_dual_cndmask_b32 v6, v6, v13 :: v_dual_cndmask_b32 v5, v5, v12
	v_and_b32_e32 v1, v6, v1
	s_delay_alu instid0(VALU_DEP_2) | instskip(NEXT) | instid1(VALU_DEP_2)
	v_and_b32_e32 v0, v5, v0
	v_mul_lo_u32 v1, v1, 24
	s_delay_alu instid0(VALU_DEP_2) | instskip(SKIP_1) | instid1(VALU_DEP_2)
	v_mul_hi_u32 v12, v0, 24
	v_mul_lo_u32 v0, v0, 24
	v_add_nc_u32_e32 v1, v12, v1
	s_waitcnt vmcnt(0)
	s_delay_alu instid0(VALU_DEP_2) | instskip(SKIP_1) | instid1(VALU_DEP_3)
	v_add_co_u32 v0, vcc_lo, v7, v0
	v_mov_b32_e32 v7, v10
	v_add_co_ci_u32_e32 v1, vcc_lo, v8, v1, vcc_lo
	v_mov_b32_e32 v8, v11
	global_store_b64 v[0:1], v[10:11], off
	s_waitcnt_vscnt null, 0x0
	global_atomic_cmpswap_b64 v[7:8], v9, v[5:8], s[2:3] offset:24 glc
	s_waitcnt vmcnt(0)
	v_cmp_ne_u64_e32 vcc_lo, v[7:8], v[10:11]
	s_and_b32 exec_lo, exec_lo, vcc_lo
	s_cbranch_execz .LBB4_349
; %bb.347:
	s_mov_b32 s0, 0
.LBB4_348:                              ; =>This Inner Loop Header: Depth=1
	s_sleep 1
	global_store_b64 v[0:1], v[7:8], off
	s_waitcnt_vscnt null, 0x0
	global_atomic_cmpswap_b64 v[10:11], v9, v[5:8], s[2:3] offset:24 glc
	s_waitcnt vmcnt(0)
	v_cmp_eq_u64_e32 vcc_lo, v[10:11], v[7:8]
	v_dual_mov_b32 v7, v10 :: v_dual_mov_b32 v8, v11
	s_or_b32 s0, vcc_lo, s0
	s_delay_alu instid0(SALU_CYCLE_1)
	s_and_not1_b32 exec_lo, exec_lo, s0
	s_cbranch_execnz .LBB4_348
.LBB4_349:
	s_or_b32 exec_lo, exec_lo, s1
	s_getpc_b64 s[4:5]
	s_add_u32 s4, s4, .str.5@rel32@lo+4
	s_addc_u32 s5, s5, .str.5@rel32@hi+12
	s_delay_alu instid0(SALU_CYCLE_1)
	s_cmp_lg_u64 s[4:5], 0
	s_cbranch_scc0 .LBB4_428
; %bb.350:
	s_waitcnt vmcnt(0)
	v_dual_mov_b32 v9, 0 :: v_dual_and_b32 v34, 2, v3
	v_dual_mov_b32 v6, v4 :: v_dual_and_b32 v5, -3, v3
	v_dual_mov_b32 v10, 2 :: v_dual_mov_b32 v11, 1
	s_mov_b64 s[6:7], 0x59
	s_branch .LBB4_352
.LBB4_351:                              ;   in Loop: Header=BB4_352 Depth=1
	s_or_b32 exec_lo, exec_lo, s1
	s_sub_u32 s6, s6, s8
	s_subb_u32 s7, s7, s9
	s_add_u32 s4, s4, s8
	s_addc_u32 s5, s5, s9
	s_cmp_lg_u64 s[6:7], 0
	s_cbranch_scc0 .LBB4_427
.LBB4_352:                              ; =>This Loop Header: Depth=1
                                        ;     Child Loop BB4_361 Depth 2
                                        ;     Child Loop BB4_357 Depth 2
	;; [unrolled: 1-line block ×11, first 2 shown]
	v_cmp_lt_u64_e64 s0, s[6:7], 56
	v_cmp_gt_u64_e64 s1, s[6:7], 7
                                        ; implicit-def: $vgpr14_vgpr15
                                        ; implicit-def: $sgpr15
	s_delay_alu instid0(VALU_DEP_2) | instskip(SKIP_2) | instid1(VALU_DEP_1)
	s_and_b32 s0, s0, exec_lo
	s_cselect_b32 s9, s7, 0
	s_cselect_b32 s8, s6, 56
	s_and_b32 vcc_lo, exec_lo, s1
	s_mov_b32 s0, -1
	s_cbranch_vccz .LBB4_359
; %bb.353:                              ;   in Loop: Header=BB4_352 Depth=1
	s_and_not1_b32 vcc_lo, exec_lo, s0
	s_mov_b64 s[0:1], s[4:5]
	s_cbranch_vccz .LBB4_363
.LBB4_354:                              ;   in Loop: Header=BB4_352 Depth=1
	s_cmp_gt_u32 s15, 7
	s_cbranch_scc1 .LBB4_364
.LBB4_355:                              ;   in Loop: Header=BB4_352 Depth=1
	v_mov_b32_e32 v16, 0
	v_mov_b32_e32 v17, 0
	s_cmp_eq_u32 s15, 0
	s_cbranch_scc1 .LBB4_358
; %bb.356:                              ;   in Loop: Header=BB4_352 Depth=1
	s_mov_b64 s[10:11], 0
	s_mov_b64 s[12:13], 0
.LBB4_357:                              ;   Parent Loop BB4_352 Depth=1
                                        ; =>  This Inner Loop Header: Depth=2
	s_delay_alu instid0(SALU_CYCLE_1)
	s_add_u32 s16, s0, s12
	s_addc_u32 s17, s1, s13
	s_add_u32 s12, s12, 1
	global_load_u8 v0, v9, s[16:17]
	s_addc_u32 s13, s13, 0
	s_waitcnt vmcnt(0)
	v_and_b32_e32 v8, 0xffff, v0
	s_delay_alu instid0(VALU_DEP_1) | instskip(SKIP_3) | instid1(VALU_DEP_1)
	v_lshlrev_b64 v[0:1], s10, v[8:9]
	s_add_u32 s10, s10, 8
	s_addc_u32 s11, s11, 0
	s_cmp_lg_u32 s15, s12
	v_or_b32_e32 v16, v0, v16
	s_delay_alu instid0(VALU_DEP_2)
	v_or_b32_e32 v17, v1, v17
	s_cbranch_scc1 .LBB4_357
.LBB4_358:                              ;   in Loop: Header=BB4_352 Depth=1
	s_mov_b32 s16, 0
	s_cbranch_execz .LBB4_365
	s_branch .LBB4_366
.LBB4_359:                              ;   in Loop: Header=BB4_352 Depth=1
	v_mov_b32_e32 v14, 0
	v_mov_b32_e32 v15, 0
	s_cmp_eq_u64 s[6:7], 0
	s_mov_b64 s[0:1], 0
	s_cbranch_scc1 .LBB4_362
; %bb.360:                              ;   in Loop: Header=BB4_352 Depth=1
	v_mov_b32_e32 v14, 0
	v_mov_b32_e32 v15, 0
	s_lshl_b64 s[10:11], s[8:9], 3
	s_mov_b64 s[12:13], s[4:5]
.LBB4_361:                              ;   Parent Loop BB4_352 Depth=1
                                        ; =>  This Inner Loop Header: Depth=2
	global_load_u8 v0, v9, s[12:13]
	s_waitcnt vmcnt(0)
	v_and_b32_e32 v8, 0xffff, v0
	s_delay_alu instid0(VALU_DEP_1)
	v_lshlrev_b64 v[0:1], s0, v[8:9]
	s_add_u32 s0, s0, 8
	s_addc_u32 s1, s1, 0
	s_add_u32 s12, s12, 1
	s_addc_u32 s13, s13, 0
	s_cmp_lg_u32 s10, s0
	v_or_b32_e32 v14, v0, v14
	v_or_b32_e32 v15, v1, v15
	s_cbranch_scc1 .LBB4_361
.LBB4_362:                              ;   in Loop: Header=BB4_352 Depth=1
	s_mov_b32 s15, 0
	s_mov_b64 s[0:1], s[4:5]
	s_cbranch_execnz .LBB4_354
.LBB4_363:                              ;   in Loop: Header=BB4_352 Depth=1
	global_load_b64 v[14:15], v9, s[4:5]
	s_add_i32 s15, s8, -8
	s_add_u32 s0, s4, 8
	s_addc_u32 s1, s5, 0
	s_cmp_gt_u32 s15, 7
	s_cbranch_scc0 .LBB4_355
.LBB4_364:                              ;   in Loop: Header=BB4_352 Depth=1
                                        ; implicit-def: $vgpr16_vgpr17
                                        ; implicit-def: $sgpr16
.LBB4_365:                              ;   in Loop: Header=BB4_352 Depth=1
	global_load_b64 v[16:17], v9, s[0:1]
	s_add_i32 s16, s15, -8
	s_add_u32 s0, s0, 8
	s_addc_u32 s1, s1, 0
.LBB4_366:                              ;   in Loop: Header=BB4_352 Depth=1
	s_cmp_gt_u32 s16, 7
	s_cbranch_scc1 .LBB4_371
; %bb.367:                              ;   in Loop: Header=BB4_352 Depth=1
	v_mov_b32_e32 v18, 0
	v_mov_b32_e32 v19, 0
	s_cmp_eq_u32 s16, 0
	s_cbranch_scc1 .LBB4_370
; %bb.368:                              ;   in Loop: Header=BB4_352 Depth=1
	s_mov_b64 s[10:11], 0
	s_mov_b64 s[12:13], 0
.LBB4_369:                              ;   Parent Loop BB4_352 Depth=1
                                        ; =>  This Inner Loop Header: Depth=2
	s_delay_alu instid0(SALU_CYCLE_1)
	s_add_u32 s18, s0, s12
	s_addc_u32 s19, s1, s13
	s_add_u32 s12, s12, 1
	global_load_u8 v0, v9, s[18:19]
	s_addc_u32 s13, s13, 0
	s_waitcnt vmcnt(0)
	v_and_b32_e32 v8, 0xffff, v0
	s_delay_alu instid0(VALU_DEP_1) | instskip(SKIP_3) | instid1(VALU_DEP_1)
	v_lshlrev_b64 v[0:1], s10, v[8:9]
	s_add_u32 s10, s10, 8
	s_addc_u32 s11, s11, 0
	s_cmp_lg_u32 s16, s12
	v_or_b32_e32 v18, v0, v18
	s_delay_alu instid0(VALU_DEP_2)
	v_or_b32_e32 v19, v1, v19
	s_cbranch_scc1 .LBB4_369
.LBB4_370:                              ;   in Loop: Header=BB4_352 Depth=1
	s_mov_b32 s15, 0
	s_cbranch_execz .LBB4_372
	s_branch .LBB4_373
.LBB4_371:                              ;   in Loop: Header=BB4_352 Depth=1
                                        ; implicit-def: $sgpr15
.LBB4_372:                              ;   in Loop: Header=BB4_352 Depth=1
	global_load_b64 v[18:19], v9, s[0:1]
	s_add_i32 s15, s16, -8
	s_add_u32 s0, s0, 8
	s_addc_u32 s1, s1, 0
.LBB4_373:                              ;   in Loop: Header=BB4_352 Depth=1
	s_cmp_gt_u32 s15, 7
	s_cbranch_scc1 .LBB4_378
; %bb.374:                              ;   in Loop: Header=BB4_352 Depth=1
	v_mov_b32_e32 v20, 0
	v_mov_b32_e32 v21, 0
	s_cmp_eq_u32 s15, 0
	s_cbranch_scc1 .LBB4_377
; %bb.375:                              ;   in Loop: Header=BB4_352 Depth=1
	s_mov_b64 s[10:11], 0
	s_mov_b64 s[12:13], 0
.LBB4_376:                              ;   Parent Loop BB4_352 Depth=1
                                        ; =>  This Inner Loop Header: Depth=2
	s_delay_alu instid0(SALU_CYCLE_1)
	s_add_u32 s16, s0, s12
	s_addc_u32 s17, s1, s13
	s_add_u32 s12, s12, 1
	global_load_u8 v0, v9, s[16:17]
	s_addc_u32 s13, s13, 0
	s_waitcnt vmcnt(0)
	v_and_b32_e32 v8, 0xffff, v0
	s_delay_alu instid0(VALU_DEP_1) | instskip(SKIP_3) | instid1(VALU_DEP_1)
	v_lshlrev_b64 v[0:1], s10, v[8:9]
	s_add_u32 s10, s10, 8
	s_addc_u32 s11, s11, 0
	s_cmp_lg_u32 s15, s12
	v_or_b32_e32 v20, v0, v20
	s_delay_alu instid0(VALU_DEP_2)
	v_or_b32_e32 v21, v1, v21
	s_cbranch_scc1 .LBB4_376
.LBB4_377:                              ;   in Loop: Header=BB4_352 Depth=1
	s_mov_b32 s16, 0
	s_cbranch_execz .LBB4_379
	s_branch .LBB4_380
.LBB4_378:                              ;   in Loop: Header=BB4_352 Depth=1
                                        ; implicit-def: $vgpr20_vgpr21
                                        ; implicit-def: $sgpr16
.LBB4_379:                              ;   in Loop: Header=BB4_352 Depth=1
	global_load_b64 v[20:21], v9, s[0:1]
	s_add_i32 s16, s15, -8
	s_add_u32 s0, s0, 8
	s_addc_u32 s1, s1, 0
.LBB4_380:                              ;   in Loop: Header=BB4_352 Depth=1
	s_cmp_gt_u32 s16, 7
	s_cbranch_scc1 .LBB4_385
; %bb.381:                              ;   in Loop: Header=BB4_352 Depth=1
	v_mov_b32_e32 v22, 0
	v_mov_b32_e32 v23, 0
	s_cmp_eq_u32 s16, 0
	s_cbranch_scc1 .LBB4_384
; %bb.382:                              ;   in Loop: Header=BB4_352 Depth=1
	s_mov_b64 s[10:11], 0
	s_mov_b64 s[12:13], 0
.LBB4_383:                              ;   Parent Loop BB4_352 Depth=1
                                        ; =>  This Inner Loop Header: Depth=2
	s_delay_alu instid0(SALU_CYCLE_1)
	s_add_u32 s18, s0, s12
	s_addc_u32 s19, s1, s13
	s_add_u32 s12, s12, 1
	global_load_u8 v0, v9, s[18:19]
	s_addc_u32 s13, s13, 0
	s_waitcnt vmcnt(0)
	v_and_b32_e32 v8, 0xffff, v0
	s_delay_alu instid0(VALU_DEP_1) | instskip(SKIP_3) | instid1(VALU_DEP_1)
	v_lshlrev_b64 v[0:1], s10, v[8:9]
	s_add_u32 s10, s10, 8
	s_addc_u32 s11, s11, 0
	s_cmp_lg_u32 s16, s12
	v_or_b32_e32 v22, v0, v22
	s_delay_alu instid0(VALU_DEP_2)
	v_or_b32_e32 v23, v1, v23
	s_cbranch_scc1 .LBB4_383
.LBB4_384:                              ;   in Loop: Header=BB4_352 Depth=1
	s_mov_b32 s15, 0
	s_cbranch_execz .LBB4_386
	s_branch .LBB4_387
.LBB4_385:                              ;   in Loop: Header=BB4_352 Depth=1
                                        ; implicit-def: $sgpr15
.LBB4_386:                              ;   in Loop: Header=BB4_352 Depth=1
	global_load_b64 v[22:23], v9, s[0:1]
	s_add_i32 s15, s16, -8
	s_add_u32 s0, s0, 8
	s_addc_u32 s1, s1, 0
.LBB4_387:                              ;   in Loop: Header=BB4_352 Depth=1
	s_cmp_gt_u32 s15, 7
	s_cbranch_scc1 .LBB4_392
; %bb.388:                              ;   in Loop: Header=BB4_352 Depth=1
	v_mov_b32_e32 v24, 0
	v_mov_b32_e32 v25, 0
	s_cmp_eq_u32 s15, 0
	s_cbranch_scc1 .LBB4_391
; %bb.389:                              ;   in Loop: Header=BB4_352 Depth=1
	s_mov_b64 s[10:11], 0
	s_mov_b64 s[12:13], 0
.LBB4_390:                              ;   Parent Loop BB4_352 Depth=1
                                        ; =>  This Inner Loop Header: Depth=2
	s_delay_alu instid0(SALU_CYCLE_1)
	s_add_u32 s16, s0, s12
	s_addc_u32 s17, s1, s13
	s_add_u32 s12, s12, 1
	global_load_u8 v0, v9, s[16:17]
	s_addc_u32 s13, s13, 0
	s_waitcnt vmcnt(0)
	v_and_b32_e32 v8, 0xffff, v0
	s_delay_alu instid0(VALU_DEP_1) | instskip(SKIP_3) | instid1(VALU_DEP_1)
	v_lshlrev_b64 v[0:1], s10, v[8:9]
	s_add_u32 s10, s10, 8
	s_addc_u32 s11, s11, 0
	s_cmp_lg_u32 s15, s12
	v_or_b32_e32 v24, v0, v24
	s_delay_alu instid0(VALU_DEP_2)
	v_or_b32_e32 v25, v1, v25
	s_cbranch_scc1 .LBB4_390
.LBB4_391:                              ;   in Loop: Header=BB4_352 Depth=1
	s_mov_b32 s16, 0
	s_cbranch_execz .LBB4_393
	s_branch .LBB4_394
.LBB4_392:                              ;   in Loop: Header=BB4_352 Depth=1
                                        ; implicit-def: $vgpr24_vgpr25
                                        ; implicit-def: $sgpr16
.LBB4_393:                              ;   in Loop: Header=BB4_352 Depth=1
	global_load_b64 v[24:25], v9, s[0:1]
	s_add_i32 s16, s15, -8
	s_add_u32 s0, s0, 8
	s_addc_u32 s1, s1, 0
.LBB4_394:                              ;   in Loop: Header=BB4_352 Depth=1
	s_cmp_gt_u32 s16, 7
	s_cbranch_scc1 .LBB4_399
; %bb.395:                              ;   in Loop: Header=BB4_352 Depth=1
	v_mov_b32_e32 v26, 0
	v_mov_b32_e32 v27, 0
	s_cmp_eq_u32 s16, 0
	s_cbranch_scc1 .LBB4_398
; %bb.396:                              ;   in Loop: Header=BB4_352 Depth=1
	s_mov_b64 s[10:11], 0
	s_mov_b64 s[12:13], s[0:1]
.LBB4_397:                              ;   Parent Loop BB4_352 Depth=1
                                        ; =>  This Inner Loop Header: Depth=2
	global_load_u8 v0, v9, s[12:13]
	s_add_i32 s16, s16, -1
	s_waitcnt vmcnt(0)
	v_and_b32_e32 v8, 0xffff, v0
	s_delay_alu instid0(VALU_DEP_1)
	v_lshlrev_b64 v[0:1], s10, v[8:9]
	s_add_u32 s10, s10, 8
	s_addc_u32 s11, s11, 0
	s_add_u32 s12, s12, 1
	s_addc_u32 s13, s13, 0
	s_cmp_lg_u32 s16, 0
	v_or_b32_e32 v26, v0, v26
	v_or_b32_e32 v27, v1, v27
	s_cbranch_scc1 .LBB4_397
.LBB4_398:                              ;   in Loop: Header=BB4_352 Depth=1
	s_cbranch_execz .LBB4_400
	s_branch .LBB4_401
.LBB4_399:                              ;   in Loop: Header=BB4_352 Depth=1
.LBB4_400:                              ;   in Loop: Header=BB4_352 Depth=1
	global_load_b64 v[26:27], v9, s[0:1]
.LBB4_401:                              ;   in Loop: Header=BB4_352 Depth=1
	v_readfirstlane_b32 s0, v33
	v_mov_b32_e32 v0, 0
	v_mov_b32_e32 v1, 0
	s_delay_alu instid0(VALU_DEP_3) | instskip(NEXT) | instid1(VALU_DEP_1)
	v_cmp_eq_u32_e64 s0, s0, v33
	s_and_saveexec_b32 s1, s0
	s_cbranch_execz .LBB4_407
; %bb.402:                              ;   in Loop: Header=BB4_352 Depth=1
	global_load_b64 v[30:31], v9, s[2:3] offset:24 glc
	s_waitcnt vmcnt(0)
	buffer_gl1_inv
	buffer_gl0_inv
	s_clause 0x1
	global_load_b64 v[0:1], v9, s[2:3] offset:40
	global_load_b64 v[7:8], v9, s[2:3]
	s_mov_b32 s10, exec_lo
	s_waitcnt vmcnt(1)
	v_and_b32_e32 v1, v1, v31
	v_and_b32_e32 v0, v0, v30
	s_delay_alu instid0(VALU_DEP_2) | instskip(NEXT) | instid1(VALU_DEP_2)
	v_mul_lo_u32 v1, v1, 24
	v_mul_hi_u32 v12, v0, 24
	v_mul_lo_u32 v0, v0, 24
	s_delay_alu instid0(VALU_DEP_2) | instskip(SKIP_1) | instid1(VALU_DEP_2)
	v_add_nc_u32_e32 v1, v12, v1
	s_waitcnt vmcnt(0)
	v_add_co_u32 v0, vcc_lo, v7, v0
	s_delay_alu instid0(VALU_DEP_2)
	v_add_co_ci_u32_e32 v1, vcc_lo, v8, v1, vcc_lo
	global_load_b64 v[28:29], v[0:1], off glc
	s_waitcnt vmcnt(0)
	global_atomic_cmpswap_b64 v[0:1], v9, v[28:31], s[2:3] offset:24 glc
	s_waitcnt vmcnt(0)
	buffer_gl1_inv
	buffer_gl0_inv
	v_cmpx_ne_u64_e64 v[0:1], v[30:31]
	s_cbranch_execz .LBB4_406
; %bb.403:                              ;   in Loop: Header=BB4_352 Depth=1
	s_mov_b32 s11, 0
	.p2align	6
.LBB4_404:                              ;   Parent Loop BB4_352 Depth=1
                                        ; =>  This Inner Loop Header: Depth=2
	s_sleep 1
	s_clause 0x1
	global_load_b64 v[7:8], v9, s[2:3] offset:40
	global_load_b64 v[12:13], v9, s[2:3]
	v_dual_mov_b32 v31, v1 :: v_dual_mov_b32 v30, v0
	s_waitcnt vmcnt(1)
	s_delay_alu instid0(VALU_DEP_1) | instskip(SKIP_1) | instid1(VALU_DEP_1)
	v_and_b32_e32 v7, v7, v30
	s_waitcnt vmcnt(0)
	v_mad_u64_u32 v[0:1], null, v7, 24, v[12:13]
	v_and_b32_e32 v12, v8, v31
	s_delay_alu instid0(VALU_DEP_1) | instskip(NEXT) | instid1(VALU_DEP_1)
	v_mad_u64_u32 v[7:8], null, v12, 24, v[1:2]
	v_mov_b32_e32 v1, v7
	global_load_b64 v[28:29], v[0:1], off glc
	s_waitcnt vmcnt(0)
	global_atomic_cmpswap_b64 v[0:1], v9, v[28:31], s[2:3] offset:24 glc
	s_waitcnt vmcnt(0)
	buffer_gl1_inv
	buffer_gl0_inv
	v_cmp_eq_u64_e32 vcc_lo, v[0:1], v[30:31]
	s_or_b32 s11, vcc_lo, s11
	s_delay_alu instid0(SALU_CYCLE_1)
	s_and_not1_b32 exec_lo, exec_lo, s11
	s_cbranch_execnz .LBB4_404
; %bb.405:                              ;   in Loop: Header=BB4_352 Depth=1
	s_or_b32 exec_lo, exec_lo, s11
.LBB4_406:                              ;   in Loop: Header=BB4_352 Depth=1
	s_delay_alu instid0(SALU_CYCLE_1)
	s_or_b32 exec_lo, exec_lo, s10
.LBB4_407:                              ;   in Loop: Header=BB4_352 Depth=1
	s_delay_alu instid0(SALU_CYCLE_1)
	s_or_b32 exec_lo, exec_lo, s1
	s_clause 0x1
	global_load_b64 v[7:8], v9, s[2:3] offset:40
	global_load_b128 v[28:31], v9, s[2:3]
	v_readfirstlane_b32 s10, v0
	v_readfirstlane_b32 s11, v1
	s_mov_b32 s1, exec_lo
	s_waitcnt vmcnt(1)
	v_readfirstlane_b32 s12, v7
	v_readfirstlane_b32 s13, v8
	s_delay_alu instid0(VALU_DEP_1) | instskip(NEXT) | instid1(SALU_CYCLE_1)
	s_and_b64 s[12:13], s[10:11], s[12:13]
	s_mul_i32 s15, s13, 24
	s_mul_hi_u32 s16, s12, 24
	s_mul_i32 s17, s12, 24
	s_add_i32 s16, s16, s15
	s_waitcnt vmcnt(0)
	v_add_co_u32 v0, vcc_lo, v28, s17
	v_add_co_ci_u32_e32 v1, vcc_lo, s16, v29, vcc_lo
	s_and_saveexec_b32 s15, s0
	s_cbranch_execz .LBB4_409
; %bb.408:                              ;   in Loop: Header=BB4_352 Depth=1
	v_mov_b32_e32 v8, s1
	global_store_b128 v[0:1], v[8:11], off offset:8
.LBB4_409:                              ;   in Loop: Header=BB4_352 Depth=1
	s_or_b32 exec_lo, exec_lo, s15
	s_lshl_b64 s[12:13], s[12:13], 12
	v_cmp_gt_u64_e64 vcc_lo, s[6:7], 56
	v_or_b32_e32 v8, v5, v34
	v_add_co_u32 v30, s1, v30, s12
	s_delay_alu instid0(VALU_DEP_1)
	v_add_co_ci_u32_e64 v31, s1, s13, v31, s1
	s_lshl_b32 s1, s8, 2
	v_or_b32_e32 v7, 0, v6
	v_cndmask_b32_e32 v5, v8, v5, vcc_lo
	s_add_i32 s1, s1, 28
	v_readfirstlane_b32 s12, v30
	s_and_b32 s1, s1, 0x1e0
	v_cndmask_b32_e32 v13, v7, v6, vcc_lo
	v_readfirstlane_b32 s13, v31
	v_and_or_b32 v12, 0xffffff1f, v5, s1
	s_clause 0x3
	global_store_b128 v32, v[12:15], s[12:13]
	global_store_b128 v32, v[16:19], s[12:13] offset:16
	global_store_b128 v32, v[20:23], s[12:13] offset:32
	;; [unrolled: 1-line block ×3, first 2 shown]
	s_and_saveexec_b32 s1, s0
	s_cbranch_execz .LBB4_417
; %bb.410:                              ;   in Loop: Header=BB4_352 Depth=1
	s_clause 0x1
	global_load_b64 v[16:17], v9, s[2:3] offset:32 glc
	global_load_b64 v[5:6], v9, s[2:3] offset:40
	v_dual_mov_b32 v14, s10 :: v_dual_mov_b32 v15, s11
	s_waitcnt vmcnt(0)
	v_readfirstlane_b32 s12, v5
	v_readfirstlane_b32 s13, v6
	s_delay_alu instid0(VALU_DEP_1) | instskip(NEXT) | instid1(SALU_CYCLE_1)
	s_and_b64 s[12:13], s[12:13], s[10:11]
	s_mul_i32 s13, s13, 24
	s_mul_hi_u32 s15, s12, 24
	s_mul_i32 s12, s12, 24
	s_add_i32 s15, s15, s13
	v_add_co_u32 v12, vcc_lo, v28, s12
	v_add_co_ci_u32_e32 v13, vcc_lo, s15, v29, vcc_lo
	s_mov_b32 s12, exec_lo
	global_store_b64 v[12:13], v[16:17], off
	s_waitcnt_vscnt null, 0x0
	global_atomic_cmpswap_b64 v[7:8], v9, v[14:17], s[2:3] offset:32 glc
	s_waitcnt vmcnt(0)
	v_cmpx_ne_u64_e64 v[7:8], v[16:17]
	s_cbranch_execz .LBB4_413
; %bb.411:                              ;   in Loop: Header=BB4_352 Depth=1
	s_mov_b32 s13, 0
.LBB4_412:                              ;   Parent Loop BB4_352 Depth=1
                                        ; =>  This Inner Loop Header: Depth=2
	v_dual_mov_b32 v5, s10 :: v_dual_mov_b32 v6, s11
	s_sleep 1
	global_store_b64 v[12:13], v[7:8], off
	s_waitcnt_vscnt null, 0x0
	global_atomic_cmpswap_b64 v[5:6], v9, v[5:8], s[2:3] offset:32 glc
	s_waitcnt vmcnt(0)
	v_cmp_eq_u64_e32 vcc_lo, v[5:6], v[7:8]
	v_dual_mov_b32 v8, v6 :: v_dual_mov_b32 v7, v5
	s_or_b32 s13, vcc_lo, s13
	s_delay_alu instid0(SALU_CYCLE_1)
	s_and_not1_b32 exec_lo, exec_lo, s13
	s_cbranch_execnz .LBB4_412
.LBB4_413:                              ;   in Loop: Header=BB4_352 Depth=1
	s_or_b32 exec_lo, exec_lo, s12
	global_load_b64 v[5:6], v9, s[2:3] offset:16
	s_mov_b32 s13, exec_lo
	s_mov_b32 s12, exec_lo
	v_mbcnt_lo_u32_b32 v7, s13, 0
	s_delay_alu instid0(VALU_DEP_1)
	v_cmpx_eq_u32_e32 0, v7
	s_cbranch_execz .LBB4_415
; %bb.414:                              ;   in Loop: Header=BB4_352 Depth=1
	s_bcnt1_i32_b32 s13, s13
	s_delay_alu instid0(SALU_CYCLE_1)
	v_mov_b32_e32 v8, s13
	s_waitcnt vmcnt(0)
	global_atomic_add_u64 v[5:6], v[8:9], off offset:8
.LBB4_415:                              ;   in Loop: Header=BB4_352 Depth=1
	s_or_b32 exec_lo, exec_lo, s12
	s_waitcnt vmcnt(0)
	global_load_b64 v[12:13], v[5:6], off offset:16
	s_waitcnt vmcnt(0)
	v_cmp_eq_u64_e32 vcc_lo, 0, v[12:13]
	s_cbranch_vccnz .LBB4_417
; %bb.416:                              ;   in Loop: Header=BB4_352 Depth=1
	global_load_b32 v8, v[5:6], off offset:24
	s_waitcnt vmcnt(0)
	v_and_b32_e32 v5, 0xffffff, v8
	s_waitcnt_vscnt null, 0x0
	global_store_b64 v[12:13], v[8:9], off
	v_readfirstlane_b32 m0, v5
	s_sendmsg sendmsg(MSG_INTERRUPT)
.LBB4_417:                              ;   in Loop: Header=BB4_352 Depth=1
	s_or_b32 exec_lo, exec_lo, s1
	v_add_co_u32 v5, vcc_lo, v30, v32
	v_add_co_ci_u32_e32 v6, vcc_lo, 0, v31, vcc_lo
	s_branch .LBB4_421
	.p2align	6
.LBB4_418:                              ;   in Loop: Header=BB4_421 Depth=2
	s_or_b32 exec_lo, exec_lo, s1
	s_delay_alu instid0(VALU_DEP_1) | instskip(NEXT) | instid1(VALU_DEP_1)
	v_readfirstlane_b32 s1, v7
	s_cmp_eq_u32 s1, 0
	s_cbranch_scc1 .LBB4_420
; %bb.419:                              ;   in Loop: Header=BB4_421 Depth=2
	s_sleep 1
	s_cbranch_execnz .LBB4_421
	s_branch .LBB4_423
	.p2align	6
.LBB4_420:                              ;   in Loop: Header=BB4_352 Depth=1
	s_branch .LBB4_423
.LBB4_421:                              ;   Parent Loop BB4_352 Depth=1
                                        ; =>  This Inner Loop Header: Depth=2
	v_mov_b32_e32 v7, 1
	s_and_saveexec_b32 s1, s0
	s_cbranch_execz .LBB4_418
; %bb.422:                              ;   in Loop: Header=BB4_421 Depth=2
	global_load_b32 v7, v[0:1], off offset:20 glc
	s_waitcnt vmcnt(0)
	buffer_gl1_inv
	buffer_gl0_inv
	v_and_b32_e32 v7, 1, v7
	s_branch .LBB4_418
.LBB4_423:                              ;   in Loop: Header=BB4_352 Depth=1
	global_load_b128 v[5:8], v[5:6], off
	s_and_saveexec_b32 s1, s0
	s_cbranch_execz .LBB4_351
; %bb.424:                              ;   in Loop: Header=BB4_352 Depth=1
	s_clause 0x2
	global_load_b64 v[0:1], v9, s[2:3] offset:40
	global_load_b64 v[7:8], v9, s[2:3] offset:24 glc
	global_load_b64 v[14:15], v9, s[2:3]
	s_waitcnt vmcnt(2)
	v_add_co_u32 v16, vcc_lo, v0, 1
	v_add_co_ci_u32_e32 v17, vcc_lo, 0, v1, vcc_lo
	s_delay_alu instid0(VALU_DEP_2) | instskip(NEXT) | instid1(VALU_DEP_2)
	v_add_co_u32 v12, vcc_lo, v16, s10
	v_add_co_ci_u32_e32 v13, vcc_lo, s11, v17, vcc_lo
	s_delay_alu instid0(VALU_DEP_1) | instskip(SKIP_1) | instid1(VALU_DEP_1)
	v_cmp_eq_u64_e32 vcc_lo, 0, v[12:13]
	v_dual_cndmask_b32 v13, v13, v17 :: v_dual_cndmask_b32 v12, v12, v16
	v_and_b32_e32 v1, v13, v1
	s_delay_alu instid0(VALU_DEP_2) | instskip(NEXT) | instid1(VALU_DEP_1)
	v_and_b32_e32 v0, v12, v0
	v_mul_hi_u32 v16, v0, 24
	v_mul_lo_u32 v0, v0, 24
	s_waitcnt vmcnt(0)
	s_delay_alu instid0(VALU_DEP_1) | instskip(SKIP_2) | instid1(VALU_DEP_1)
	v_add_co_u32 v0, vcc_lo, v14, v0
	v_mov_b32_e32 v14, v7
	v_mul_lo_u32 v1, v1, 24
	v_add_nc_u32_e32 v1, v16, v1
	s_delay_alu instid0(VALU_DEP_1)
	v_add_co_ci_u32_e32 v1, vcc_lo, v15, v1, vcc_lo
	v_mov_b32_e32 v15, v8
	global_store_b64 v[0:1], v[7:8], off
	s_waitcnt_vscnt null, 0x0
	global_atomic_cmpswap_b64 v[14:15], v9, v[12:15], s[2:3] offset:24 glc
	s_waitcnt vmcnt(0)
	v_cmp_ne_u64_e32 vcc_lo, v[14:15], v[7:8]
	s_and_b32 exec_lo, exec_lo, vcc_lo
	s_cbranch_execz .LBB4_351
; %bb.425:                              ;   in Loop: Header=BB4_352 Depth=1
	s_mov_b32 s0, 0
.LBB4_426:                              ;   Parent Loop BB4_352 Depth=1
                                        ; =>  This Inner Loop Header: Depth=2
	s_sleep 1
	global_store_b64 v[0:1], v[14:15], off
	s_waitcnt_vscnt null, 0x0
	global_atomic_cmpswap_b64 v[7:8], v9, v[12:15], s[2:3] offset:24 glc
	s_waitcnt vmcnt(0)
	v_cmp_eq_u64_e32 vcc_lo, v[7:8], v[14:15]
	v_dual_mov_b32 v15, v8 :: v_dual_mov_b32 v14, v7
	s_or_b32 s0, vcc_lo, s0
	s_delay_alu instid0(SALU_CYCLE_1)
	s_and_not1_b32 exec_lo, exec_lo, s0
	s_cbranch_execnz .LBB4_426
	s_branch .LBB4_351
.LBB4_427:
	s_branch .LBB4_456
.LBB4_428:
                                        ; implicit-def: $vgpr5_vgpr6
	s_cbranch_execz .LBB4_456
; %bb.429:
	v_readfirstlane_b32 s0, v33
	v_mov_b32_e32 v0, 0
	v_mov_b32_e32 v1, 0
	s_delay_alu instid0(VALU_DEP_3) | instskip(NEXT) | instid1(VALU_DEP_1)
	v_cmp_eq_u32_e64 s0, s0, v33
	s_and_saveexec_b32 s1, s0
	s_cbranch_execz .LBB4_435
; %bb.430:
	s_waitcnt vmcnt(0)
	v_mov_b32_e32 v5, 0
	s_mov_b32 s4, exec_lo
	global_load_b64 v[8:9], v5, s[2:3] offset:24 glc
	s_waitcnt vmcnt(0)
	buffer_gl1_inv
	buffer_gl0_inv
	s_clause 0x1
	global_load_b64 v[0:1], v5, s[2:3] offset:40
	global_load_b64 v[6:7], v5, s[2:3]
	s_waitcnt vmcnt(1)
	v_and_b32_e32 v0, v0, v8
	v_and_b32_e32 v1, v1, v9
	s_delay_alu instid0(VALU_DEP_2) | instskip(NEXT) | instid1(VALU_DEP_2)
	v_mul_hi_u32 v10, v0, 24
	v_mul_lo_u32 v1, v1, 24
	v_mul_lo_u32 v0, v0, 24
	s_delay_alu instid0(VALU_DEP_2) | instskip(SKIP_1) | instid1(VALU_DEP_2)
	v_add_nc_u32_e32 v1, v10, v1
	s_waitcnt vmcnt(0)
	v_add_co_u32 v0, vcc_lo, v6, v0
	s_delay_alu instid0(VALU_DEP_2)
	v_add_co_ci_u32_e32 v1, vcc_lo, v7, v1, vcc_lo
	global_load_b64 v[6:7], v[0:1], off glc
	s_waitcnt vmcnt(0)
	global_atomic_cmpswap_b64 v[0:1], v5, v[6:9], s[2:3] offset:24 glc
	s_waitcnt vmcnt(0)
	buffer_gl1_inv
	buffer_gl0_inv
	v_cmpx_ne_u64_e64 v[0:1], v[8:9]
	s_cbranch_execz .LBB4_434
; %bb.431:
	s_mov_b32 s5, 0
	.p2align	6
.LBB4_432:                              ; =>This Inner Loop Header: Depth=1
	s_sleep 1
	s_clause 0x1
	global_load_b64 v[6:7], v5, s[2:3] offset:40
	global_load_b64 v[10:11], v5, s[2:3]
	v_dual_mov_b32 v9, v1 :: v_dual_mov_b32 v8, v0
	s_waitcnt vmcnt(1)
	s_delay_alu instid0(VALU_DEP_1) | instskip(SKIP_1) | instid1(VALU_DEP_1)
	v_and_b32_e32 v6, v6, v8
	s_waitcnt vmcnt(0)
	v_mad_u64_u32 v[0:1], null, v6, 24, v[10:11]
	v_and_b32_e32 v10, v7, v9
	s_delay_alu instid0(VALU_DEP_1) | instskip(NEXT) | instid1(VALU_DEP_1)
	v_mad_u64_u32 v[6:7], null, v10, 24, v[1:2]
	v_mov_b32_e32 v1, v6
	global_load_b64 v[6:7], v[0:1], off glc
	s_waitcnt vmcnt(0)
	global_atomic_cmpswap_b64 v[0:1], v5, v[6:9], s[2:3] offset:24 glc
	s_waitcnt vmcnt(0)
	buffer_gl1_inv
	buffer_gl0_inv
	v_cmp_eq_u64_e32 vcc_lo, v[0:1], v[8:9]
	s_or_b32 s5, vcc_lo, s5
	s_delay_alu instid0(SALU_CYCLE_1)
	s_and_not1_b32 exec_lo, exec_lo, s5
	s_cbranch_execnz .LBB4_432
; %bb.433:
	s_or_b32 exec_lo, exec_lo, s5
.LBB4_434:
	s_delay_alu instid0(SALU_CYCLE_1)
	s_or_b32 exec_lo, exec_lo, s4
.LBB4_435:
	s_delay_alu instid0(SALU_CYCLE_1)
	s_or_b32 exec_lo, exec_lo, s1
	s_waitcnt vmcnt(0)
	v_mov_b32_e32 v5, 0
	v_readfirstlane_b32 s4, v0
	v_readfirstlane_b32 s5, v1
	s_mov_b32 s1, exec_lo
	s_clause 0x1
	global_load_b64 v[11:12], v5, s[2:3] offset:40
	global_load_b128 v[7:10], v5, s[2:3]
	s_waitcnt vmcnt(1)
	v_readfirstlane_b32 s6, v11
	v_readfirstlane_b32 s7, v12
	s_delay_alu instid0(VALU_DEP_1) | instskip(NEXT) | instid1(SALU_CYCLE_1)
	s_and_b64 s[6:7], s[4:5], s[6:7]
	s_mul_i32 s8, s7, 24
	s_mul_hi_u32 s9, s6, 24
	s_mul_i32 s10, s6, 24
	s_add_i32 s9, s9, s8
	s_waitcnt vmcnt(0)
	v_add_co_u32 v0, vcc_lo, v7, s10
	v_add_co_ci_u32_e32 v1, vcc_lo, s9, v8, vcc_lo
	s_and_saveexec_b32 s8, s0
	s_cbranch_execz .LBB4_437
; %bb.436:
	v_dual_mov_b32 v11, s1 :: v_dual_mov_b32 v12, v5
	v_dual_mov_b32 v13, 2 :: v_dual_mov_b32 v14, 1
	global_store_b128 v[0:1], v[11:14], off offset:8
.LBB4_437:
	s_or_b32 exec_lo, exec_lo, s8
	s_lshl_b64 s[6:7], s[6:7], 12
	s_mov_b32 s8, 0
	v_add_co_u32 v9, vcc_lo, v9, s6
	v_add_co_ci_u32_e32 v10, vcc_lo, s7, v10, vcc_lo
	s_mov_b32 s11, s8
	s_delay_alu instid0(VALU_DEP_2)
	v_readfirstlane_b32 s6, v9
	v_add_co_u32 v9, vcc_lo, v9, v32
	s_mov_b32 s9, s8
	s_mov_b32 s10, s8
	v_and_or_b32 v3, 0xffffff1f, v3, 32
	v_mov_b32_e32 v6, v5
	v_readfirstlane_b32 s7, v10
	v_dual_mov_b32 v14, s11 :: v_dual_mov_b32 v11, s8
	v_add_co_ci_u32_e32 v10, vcc_lo, 0, v10, vcc_lo
	v_dual_mov_b32 v13, s10 :: v_dual_mov_b32 v12, s9
	s_clause 0x3
	global_store_b128 v32, v[3:6], s[6:7]
	global_store_b128 v32, v[11:14], s[6:7] offset:16
	global_store_b128 v32, v[11:14], s[6:7] offset:32
	global_store_b128 v32, v[11:14], s[6:7] offset:48
	s_and_saveexec_b32 s1, s0
	s_cbranch_execz .LBB4_445
; %bb.438:
	v_dual_mov_b32 v11, 0 :: v_dual_mov_b32 v12, s4
	v_mov_b32_e32 v13, s5
	s_clause 0x1
	global_load_b64 v[14:15], v11, s[2:3] offset:32 glc
	global_load_b64 v[3:4], v11, s[2:3] offset:40
	s_waitcnt vmcnt(0)
	v_readfirstlane_b32 s6, v3
	v_readfirstlane_b32 s7, v4
	s_delay_alu instid0(VALU_DEP_1) | instskip(NEXT) | instid1(SALU_CYCLE_1)
	s_and_b64 s[6:7], s[6:7], s[4:5]
	s_mul_i32 s7, s7, 24
	s_mul_hi_u32 s8, s6, 24
	s_mul_i32 s6, s6, 24
	s_add_i32 s8, s8, s7
	v_add_co_u32 v7, vcc_lo, v7, s6
	v_add_co_ci_u32_e32 v8, vcc_lo, s8, v8, vcc_lo
	s_mov_b32 s6, exec_lo
	global_store_b64 v[7:8], v[14:15], off
	s_waitcnt_vscnt null, 0x0
	global_atomic_cmpswap_b64 v[5:6], v11, v[12:15], s[2:3] offset:32 glc
	s_waitcnt vmcnt(0)
	v_cmpx_ne_u64_e64 v[5:6], v[14:15]
	s_cbranch_execz .LBB4_441
; %bb.439:
	s_mov_b32 s7, 0
.LBB4_440:                              ; =>This Inner Loop Header: Depth=1
	v_dual_mov_b32 v3, s4 :: v_dual_mov_b32 v4, s5
	s_sleep 1
	global_store_b64 v[7:8], v[5:6], off
	s_waitcnt_vscnt null, 0x0
	global_atomic_cmpswap_b64 v[3:4], v11, v[3:6], s[2:3] offset:32 glc
	s_waitcnt vmcnt(0)
	v_cmp_eq_u64_e32 vcc_lo, v[3:4], v[5:6]
	v_dual_mov_b32 v6, v4 :: v_dual_mov_b32 v5, v3
	s_or_b32 s7, vcc_lo, s7
	s_delay_alu instid0(SALU_CYCLE_1)
	s_and_not1_b32 exec_lo, exec_lo, s7
	s_cbranch_execnz .LBB4_440
.LBB4_441:
	s_or_b32 exec_lo, exec_lo, s6
	v_mov_b32_e32 v6, 0
	s_mov_b32 s7, exec_lo
	s_mov_b32 s6, exec_lo
	v_mbcnt_lo_u32_b32 v5, s7, 0
	global_load_b64 v[3:4], v6, s[2:3] offset:16
	v_cmpx_eq_u32_e32 0, v5
	s_cbranch_execz .LBB4_443
; %bb.442:
	s_bcnt1_i32_b32 s7, s7
	s_delay_alu instid0(SALU_CYCLE_1)
	v_mov_b32_e32 v5, s7
	s_waitcnt vmcnt(0)
	global_atomic_add_u64 v[3:4], v[5:6], off offset:8
.LBB4_443:
	s_or_b32 exec_lo, exec_lo, s6
	s_waitcnt vmcnt(0)
	global_load_b64 v[5:6], v[3:4], off offset:16
	s_waitcnt vmcnt(0)
	v_cmp_eq_u64_e32 vcc_lo, 0, v[5:6]
	s_cbranch_vccnz .LBB4_445
; %bb.444:
	global_load_b32 v3, v[3:4], off offset:24
	s_waitcnt vmcnt(0)
	v_dual_mov_b32 v4, 0 :: v_dual_and_b32 v7, 0xffffff, v3
	s_waitcnt_vscnt null, 0x0
	global_store_b64 v[5:6], v[3:4], off
	v_readfirstlane_b32 m0, v7
	s_sendmsg sendmsg(MSG_INTERRUPT)
.LBB4_445:
	s_or_b32 exec_lo, exec_lo, s1
	s_branch .LBB4_449
	.p2align	6
.LBB4_446:                              ;   in Loop: Header=BB4_449 Depth=1
	s_or_b32 exec_lo, exec_lo, s1
	s_delay_alu instid0(VALU_DEP_1) | instskip(NEXT) | instid1(VALU_DEP_1)
	v_readfirstlane_b32 s1, v3
	s_cmp_eq_u32 s1, 0
	s_cbranch_scc1 .LBB4_448
; %bb.447:                              ;   in Loop: Header=BB4_449 Depth=1
	s_sleep 1
	s_cbranch_execnz .LBB4_449
	s_branch .LBB4_451
	.p2align	6
.LBB4_448:
	s_branch .LBB4_451
.LBB4_449:                              ; =>This Inner Loop Header: Depth=1
	v_mov_b32_e32 v3, 1
	s_and_saveexec_b32 s1, s0
	s_cbranch_execz .LBB4_446
; %bb.450:                              ;   in Loop: Header=BB4_449 Depth=1
	global_load_b32 v3, v[0:1], off offset:20 glc
	s_waitcnt vmcnt(0)
	buffer_gl1_inv
	buffer_gl0_inv
	v_and_b32_e32 v3, 1, v3
	s_branch .LBB4_446
.LBB4_451:
	global_load_b64 v[5:6], v[9:10], off
	s_and_saveexec_b32 s1, s0
	s_cbranch_execz .LBB4_455
; %bb.452:
	v_mov_b32_e32 v3, 0
	s_clause 0x2
	global_load_b64 v[0:1], v3, s[2:3] offset:40
	global_load_b64 v[11:12], v3, s[2:3] offset:24 glc
	global_load_b64 v[9:10], v3, s[2:3]
	s_waitcnt vmcnt(2)
	v_add_co_u32 v4, vcc_lo, v0, 1
	v_add_co_ci_u32_e32 v13, vcc_lo, 0, v1, vcc_lo
	s_delay_alu instid0(VALU_DEP_2) | instskip(NEXT) | instid1(VALU_DEP_2)
	v_add_co_u32 v7, vcc_lo, v4, s4
	v_add_co_ci_u32_e32 v8, vcc_lo, s5, v13, vcc_lo
	s_delay_alu instid0(VALU_DEP_1) | instskip(SKIP_1) | instid1(VALU_DEP_1)
	v_cmp_eq_u64_e32 vcc_lo, 0, v[7:8]
	v_dual_cndmask_b32 v8, v8, v13 :: v_dual_cndmask_b32 v7, v7, v4
	v_and_b32_e32 v1, v8, v1
	s_delay_alu instid0(VALU_DEP_2) | instskip(NEXT) | instid1(VALU_DEP_2)
	v_and_b32_e32 v0, v7, v0
	v_mul_lo_u32 v1, v1, 24
	s_delay_alu instid0(VALU_DEP_2) | instskip(SKIP_1) | instid1(VALU_DEP_2)
	v_mul_hi_u32 v4, v0, 24
	v_mul_lo_u32 v0, v0, 24
	v_add_nc_u32_e32 v1, v4, v1
	s_waitcnt vmcnt(0)
	s_delay_alu instid0(VALU_DEP_2) | instskip(SKIP_1) | instid1(VALU_DEP_3)
	v_add_co_u32 v0, vcc_lo, v9, v0
	v_mov_b32_e32 v9, v11
	v_add_co_ci_u32_e32 v1, vcc_lo, v10, v1, vcc_lo
	v_mov_b32_e32 v10, v12
	global_store_b64 v[0:1], v[11:12], off
	s_waitcnt_vscnt null, 0x0
	global_atomic_cmpswap_b64 v[9:10], v3, v[7:10], s[2:3] offset:24 glc
	s_waitcnt vmcnt(0)
	v_cmp_ne_u64_e32 vcc_lo, v[9:10], v[11:12]
	s_and_b32 exec_lo, exec_lo, vcc_lo
	s_cbranch_execz .LBB4_455
; %bb.453:
	s_mov_b32 s0, 0
.LBB4_454:                              ; =>This Inner Loop Header: Depth=1
	s_sleep 1
	global_store_b64 v[0:1], v[9:10], off
	s_waitcnt_vscnt null, 0x0
	global_atomic_cmpswap_b64 v[11:12], v3, v[7:10], s[2:3] offset:24 glc
	s_waitcnt vmcnt(0)
	v_cmp_eq_u64_e32 vcc_lo, v[11:12], v[9:10]
	v_dual_mov_b32 v9, v11 :: v_dual_mov_b32 v10, v12
	s_or_b32 s0, vcc_lo, s0
	s_delay_alu instid0(SALU_CYCLE_1)
	s_and_not1_b32 exec_lo, exec_lo, s0
	s_cbranch_execnz .LBB4_454
.LBB4_455:
	s_or_b32 exec_lo, exec_lo, s1
.LBB4_456:
	v_readfirstlane_b32 s0, v33
	v_mov_b32_e32 v0, 0
	v_mov_b32_e32 v1, 0
	s_delay_alu instid0(VALU_DEP_3) | instskip(NEXT) | instid1(VALU_DEP_1)
	v_cmp_eq_u32_e64 s0, s0, v33
	s_and_saveexec_b32 s1, s0
	s_cbranch_execz .LBB4_462
; %bb.457:
	s_waitcnt vmcnt(0)
	v_mov_b32_e32 v3, 0
	s_mov_b32 s4, exec_lo
	global_load_b64 v[9:10], v3, s[2:3] offset:24 glc
	s_waitcnt vmcnt(0)
	buffer_gl1_inv
	buffer_gl0_inv
	s_clause 0x1
	global_load_b64 v[0:1], v3, s[2:3] offset:40
	global_load_b64 v[7:8], v3, s[2:3]
	s_waitcnt vmcnt(1)
	v_and_b32_e32 v0, v0, v9
	v_and_b32_e32 v1, v1, v10
	s_delay_alu instid0(VALU_DEP_2) | instskip(NEXT) | instid1(VALU_DEP_2)
	v_mul_hi_u32 v4, v0, 24
	v_mul_lo_u32 v1, v1, 24
	v_mul_lo_u32 v0, v0, 24
	s_delay_alu instid0(VALU_DEP_2) | instskip(SKIP_1) | instid1(VALU_DEP_2)
	v_add_nc_u32_e32 v1, v4, v1
	s_waitcnt vmcnt(0)
	v_add_co_u32 v0, vcc_lo, v7, v0
	s_delay_alu instid0(VALU_DEP_2)
	v_add_co_ci_u32_e32 v1, vcc_lo, v8, v1, vcc_lo
	global_load_b64 v[7:8], v[0:1], off glc
	s_waitcnt vmcnt(0)
	global_atomic_cmpswap_b64 v[0:1], v3, v[7:10], s[2:3] offset:24 glc
	s_waitcnt vmcnt(0)
	buffer_gl1_inv
	buffer_gl0_inv
	v_cmpx_ne_u64_e64 v[0:1], v[9:10]
	s_cbranch_execz .LBB4_461
; %bb.458:
	s_mov_b32 s5, 0
	.p2align	6
.LBB4_459:                              ; =>This Inner Loop Header: Depth=1
	s_sleep 1
	s_clause 0x1
	global_load_b64 v[7:8], v3, s[2:3] offset:40
	global_load_b64 v[11:12], v3, s[2:3]
	v_dual_mov_b32 v10, v1 :: v_dual_mov_b32 v9, v0
	s_waitcnt vmcnt(1)
	s_delay_alu instid0(VALU_DEP_1) | instskip(SKIP_1) | instid1(VALU_DEP_1)
	v_and_b32_e32 v4, v7, v9
	s_waitcnt vmcnt(0)
	v_mad_u64_u32 v[0:1], null, v4, 24, v[11:12]
	v_and_b32_e32 v4, v8, v10
	s_delay_alu instid0(VALU_DEP_1) | instskip(NEXT) | instid1(VALU_DEP_1)
	v_mad_u64_u32 v[7:8], null, v4, 24, v[1:2]
	v_mov_b32_e32 v1, v7
	global_load_b64 v[7:8], v[0:1], off glc
	s_waitcnt vmcnt(0)
	global_atomic_cmpswap_b64 v[0:1], v3, v[7:10], s[2:3] offset:24 glc
	s_waitcnt vmcnt(0)
	buffer_gl1_inv
	buffer_gl0_inv
	v_cmp_eq_u64_e32 vcc_lo, v[0:1], v[9:10]
	s_or_b32 s5, vcc_lo, s5
	s_delay_alu instid0(SALU_CYCLE_1)
	s_and_not1_b32 exec_lo, exec_lo, s5
	s_cbranch_execnz .LBB4_459
; %bb.460:
	s_or_b32 exec_lo, exec_lo, s5
.LBB4_461:
	s_delay_alu instid0(SALU_CYCLE_1)
	s_or_b32 exec_lo, exec_lo, s4
.LBB4_462:
	s_delay_alu instid0(SALU_CYCLE_1)
	s_or_b32 exec_lo, exec_lo, s1
	s_waitcnt vmcnt(0)
	v_mov_b32_e32 v8, 0
	v_readfirstlane_b32 s4, v0
	v_readfirstlane_b32 s5, v1
	s_mov_b32 s1, exec_lo
	s_clause 0x1
	global_load_b64 v[3:4], v8, s[2:3] offset:40
	global_load_b128 v[9:12], v8, s[2:3]
	s_waitcnt vmcnt(1)
	v_readfirstlane_b32 s6, v3
	v_readfirstlane_b32 s7, v4
	s_delay_alu instid0(VALU_DEP_1) | instskip(NEXT) | instid1(SALU_CYCLE_1)
	s_and_b64 s[6:7], s[4:5], s[6:7]
	s_mul_i32 s8, s7, 24
	s_mul_hi_u32 s9, s6, 24
	s_mul_i32 s10, s6, 24
	s_add_i32 s9, s9, s8
	s_waitcnt vmcnt(0)
	v_add_co_u32 v0, vcc_lo, v9, s10
	v_add_co_ci_u32_e32 v1, vcc_lo, s9, v10, vcc_lo
	s_and_saveexec_b32 s8, s0
	s_cbranch_execz .LBB4_464
; %bb.463:
	v_dual_mov_b32 v7, s1 :: v_dual_mov_b32 v16, 1
	v_dual_mov_b32 v15, 2 :: v_dual_mov_b32 v14, v8
	s_delay_alu instid0(VALU_DEP_2)
	v_mov_b32_e32 v13, v7
	global_store_b128 v[0:1], v[13:16], off offset:8
.LBB4_464:
	s_or_b32 exec_lo, exec_lo, s8
	s_lshl_b64 s[6:7], s[6:7], 12
	s_mov_b32 s8, 0
	v_add_co_u32 v3, vcc_lo, v11, s6
	v_add_co_ci_u32_e32 v4, vcc_lo, s7, v12, vcc_lo
	s_bcnt1_i32_b32 s1, s14
	s_mov_b32 s11, s8
	s_delay_alu instid0(VALU_DEP_2)
	v_add_co_u32 v11, vcc_lo, v3, v32
	s_mov_b32 s9, s8
	s_mov_b32 s10, s8
	v_and_or_b32 v5, 0xffffff1f, v5, 32
	v_dual_mov_b32 v7, s1 :: v_dual_mov_b32 v16, s11
	v_readfirstlane_b32 s6, v3
	v_readfirstlane_b32 s7, v4
	v_add_co_ci_u32_e32 v12, vcc_lo, 0, v4, vcc_lo
	v_dual_mov_b32 v15, s10 :: v_dual_mov_b32 v14, s9
	v_mov_b32_e32 v13, s8
	s_clause 0x3
	global_store_b128 v32, v[5:8], s[6:7]
	global_store_b128 v32, v[13:16], s[6:7] offset:16
	global_store_b128 v32, v[13:16], s[6:7] offset:32
	;; [unrolled: 1-line block ×3, first 2 shown]
	s_and_saveexec_b32 s1, s0
	s_cbranch_execz .LBB4_472
; %bb.465:
	v_dual_mov_b32 v13, 0 :: v_dual_mov_b32 v14, s4
	v_mov_b32_e32 v15, s5
	s_clause 0x1
	global_load_b64 v[16:17], v13, s[2:3] offset:32 glc
	global_load_b64 v[3:4], v13, s[2:3] offset:40
	s_waitcnt vmcnt(0)
	v_readfirstlane_b32 s6, v3
	v_readfirstlane_b32 s7, v4
	s_delay_alu instid0(VALU_DEP_1) | instskip(NEXT) | instid1(SALU_CYCLE_1)
	s_and_b64 s[6:7], s[6:7], s[4:5]
	s_mul_i32 s7, s7, 24
	s_mul_hi_u32 s8, s6, 24
	s_mul_i32 s6, s6, 24
	s_add_i32 s8, s8, s7
	v_add_co_u32 v7, vcc_lo, v9, s6
	v_add_co_ci_u32_e32 v8, vcc_lo, s8, v10, vcc_lo
	s_mov_b32 s6, exec_lo
	global_store_b64 v[7:8], v[16:17], off
	s_waitcnt_vscnt null, 0x0
	global_atomic_cmpswap_b64 v[5:6], v13, v[14:17], s[2:3] offset:32 glc
	s_waitcnt vmcnt(0)
	v_cmpx_ne_u64_e64 v[5:6], v[16:17]
	s_cbranch_execz .LBB4_468
; %bb.466:
	s_mov_b32 s7, 0
.LBB4_467:                              ; =>This Inner Loop Header: Depth=1
	v_dual_mov_b32 v3, s4 :: v_dual_mov_b32 v4, s5
	s_sleep 1
	global_store_b64 v[7:8], v[5:6], off
	s_waitcnt_vscnt null, 0x0
	global_atomic_cmpswap_b64 v[3:4], v13, v[3:6], s[2:3] offset:32 glc
	s_waitcnt vmcnt(0)
	v_cmp_eq_u64_e32 vcc_lo, v[3:4], v[5:6]
	v_dual_mov_b32 v6, v4 :: v_dual_mov_b32 v5, v3
	s_or_b32 s7, vcc_lo, s7
	s_delay_alu instid0(SALU_CYCLE_1)
	s_and_not1_b32 exec_lo, exec_lo, s7
	s_cbranch_execnz .LBB4_467
.LBB4_468:
	s_or_b32 exec_lo, exec_lo, s6
	v_mov_b32_e32 v6, 0
	s_mov_b32 s7, exec_lo
	s_mov_b32 s6, exec_lo
	v_mbcnt_lo_u32_b32 v5, s7, 0
	global_load_b64 v[3:4], v6, s[2:3] offset:16
	v_cmpx_eq_u32_e32 0, v5
	s_cbranch_execz .LBB4_470
; %bb.469:
	s_bcnt1_i32_b32 s7, s7
	s_delay_alu instid0(SALU_CYCLE_1)
	v_mov_b32_e32 v5, s7
	s_waitcnt vmcnt(0)
	global_atomic_add_u64 v[3:4], v[5:6], off offset:8
.LBB4_470:
	s_or_b32 exec_lo, exec_lo, s6
	s_waitcnt vmcnt(0)
	global_load_b64 v[5:6], v[3:4], off offset:16
	s_waitcnt vmcnt(0)
	v_cmp_eq_u64_e32 vcc_lo, 0, v[5:6]
	s_cbranch_vccnz .LBB4_472
; %bb.471:
	global_load_b32 v3, v[3:4], off offset:24
	s_waitcnt vmcnt(0)
	v_dual_mov_b32 v4, 0 :: v_dual_and_b32 v7, 0xffffff, v3
	s_waitcnt_vscnt null, 0x0
	global_store_b64 v[5:6], v[3:4], off
	v_readfirstlane_b32 m0, v7
	s_sendmsg sendmsg(MSG_INTERRUPT)
.LBB4_472:
	s_or_b32 exec_lo, exec_lo, s1
	s_branch .LBB4_476
	.p2align	6
.LBB4_473:                              ;   in Loop: Header=BB4_476 Depth=1
	s_or_b32 exec_lo, exec_lo, s1
	s_delay_alu instid0(VALU_DEP_1) | instskip(NEXT) | instid1(VALU_DEP_1)
	v_readfirstlane_b32 s1, v3
	s_cmp_eq_u32 s1, 0
	s_cbranch_scc1 .LBB4_475
; %bb.474:                              ;   in Loop: Header=BB4_476 Depth=1
	s_sleep 1
	s_cbranch_execnz .LBB4_476
	s_branch .LBB4_478
	.p2align	6
.LBB4_475:
	s_branch .LBB4_478
.LBB4_476:                              ; =>This Inner Loop Header: Depth=1
	v_mov_b32_e32 v3, 1
	s_and_saveexec_b32 s1, s0
	s_cbranch_execz .LBB4_473
; %bb.477:                              ;   in Loop: Header=BB4_476 Depth=1
	global_load_b32 v3, v[0:1], off offset:20 glc
	s_waitcnt vmcnt(0)
	buffer_gl1_inv
	buffer_gl0_inv
	v_and_b32_e32 v3, 1, v3
	s_branch .LBB4_473
.LBB4_478:
	global_load_b64 v[0:1], v[11:12], off
	s_and_saveexec_b32 s1, s0
	s_cbranch_execz .LBB4_482
; %bb.479:
	v_mov_b32_e32 v9, 0
	s_clause 0x2
	global_load_b64 v[5:6], v9, s[2:3] offset:40
	global_load_b64 v[10:11], v9, s[2:3] offset:24 glc
	global_load_b64 v[7:8], v9, s[2:3]
	s_waitcnt vmcnt(2)
	v_add_co_u32 v12, vcc_lo, v5, 1
	v_add_co_ci_u32_e32 v13, vcc_lo, 0, v6, vcc_lo
	s_delay_alu instid0(VALU_DEP_2) | instskip(NEXT) | instid1(VALU_DEP_2)
	v_add_co_u32 v3, vcc_lo, v12, s4
	v_add_co_ci_u32_e32 v4, vcc_lo, s5, v13, vcc_lo
	s_delay_alu instid0(VALU_DEP_1) | instskip(SKIP_1) | instid1(VALU_DEP_1)
	v_cmp_eq_u64_e32 vcc_lo, 0, v[3:4]
	v_dual_cndmask_b32 v4, v4, v13 :: v_dual_cndmask_b32 v3, v3, v12
	v_and_b32_e32 v6, v4, v6
	s_delay_alu instid0(VALU_DEP_2) | instskip(NEXT) | instid1(VALU_DEP_2)
	v_and_b32_e32 v5, v3, v5
	v_mul_lo_u32 v6, v6, 24
	s_delay_alu instid0(VALU_DEP_2) | instskip(SKIP_1) | instid1(VALU_DEP_2)
	v_mul_hi_u32 v12, v5, 24
	v_mul_lo_u32 v5, v5, 24
	v_add_nc_u32_e32 v6, v12, v6
	s_waitcnt vmcnt(0)
	s_delay_alu instid0(VALU_DEP_2) | instskip(SKIP_1) | instid1(VALU_DEP_3)
	v_add_co_u32 v7, vcc_lo, v7, v5
	v_mov_b32_e32 v5, v10
	v_add_co_ci_u32_e32 v8, vcc_lo, v8, v6, vcc_lo
	v_mov_b32_e32 v6, v11
	global_store_b64 v[7:8], v[10:11], off
	s_waitcnt_vscnt null, 0x0
	global_atomic_cmpswap_b64 v[5:6], v9, v[3:6], s[2:3] offset:24 glc
	s_waitcnt vmcnt(0)
	v_cmp_ne_u64_e32 vcc_lo, v[5:6], v[10:11]
	s_and_b32 exec_lo, exec_lo, vcc_lo
	s_cbranch_execz .LBB4_482
; %bb.480:
	s_mov_b32 s0, 0
.LBB4_481:                              ; =>This Inner Loop Header: Depth=1
	s_sleep 1
	global_store_b64 v[7:8], v[5:6], off
	s_waitcnt_vscnt null, 0x0
	global_atomic_cmpswap_b64 v[10:11], v9, v[3:6], s[2:3] offset:24 glc
	s_waitcnt vmcnt(0)
	v_cmp_eq_u64_e32 vcc_lo, v[10:11], v[5:6]
	v_dual_mov_b32 v5, v10 :: v_dual_mov_b32 v6, v11
	s_or_b32 s0, vcc_lo, s0
	s_delay_alu instid0(SALU_CYCLE_1)
	s_and_not1_b32 exec_lo, exec_lo, s0
	s_cbranch_execnz .LBB4_481
.LBB4_482:
	s_or_b32 exec_lo, exec_lo, s1
	v_readfirstlane_b32 s0, v33
	v_mov_b32_e32 v8, 0
	v_mov_b32_e32 v9, 0
	s_delay_alu instid0(VALU_DEP_3) | instskip(NEXT) | instid1(VALU_DEP_1)
	v_cmp_eq_u32_e64 s0, s0, v33
	s_and_saveexec_b32 s1, s0
	s_cbranch_execz .LBB4_488
; %bb.483:
	v_mov_b32_e32 v3, 0
	s_mov_b32 s4, exec_lo
	global_load_b64 v[6:7], v3, s[2:3] offset:24 glc
	s_waitcnt vmcnt(0)
	buffer_gl1_inv
	buffer_gl0_inv
	s_clause 0x1
	global_load_b64 v[4:5], v3, s[2:3] offset:40
	global_load_b64 v[8:9], v3, s[2:3]
	s_waitcnt vmcnt(1)
	v_and_b32_e32 v4, v4, v6
	v_and_b32_e32 v5, v5, v7
	s_delay_alu instid0(VALU_DEP_2) | instskip(NEXT) | instid1(VALU_DEP_2)
	v_mul_hi_u32 v10, v4, 24
	v_mul_lo_u32 v5, v5, 24
	v_mul_lo_u32 v4, v4, 24
	s_delay_alu instid0(VALU_DEP_2) | instskip(SKIP_1) | instid1(VALU_DEP_2)
	v_add_nc_u32_e32 v5, v10, v5
	s_waitcnt vmcnt(0)
	v_add_co_u32 v4, vcc_lo, v8, v4
	s_delay_alu instid0(VALU_DEP_2)
	v_add_co_ci_u32_e32 v5, vcc_lo, v9, v5, vcc_lo
	global_load_b64 v[4:5], v[4:5], off glc
	s_waitcnt vmcnt(0)
	global_atomic_cmpswap_b64 v[8:9], v3, v[4:7], s[2:3] offset:24 glc
	s_waitcnt vmcnt(0)
	buffer_gl1_inv
	buffer_gl0_inv
	v_cmpx_ne_u64_e64 v[8:9], v[6:7]
	s_cbranch_execz .LBB4_487
; %bb.484:
	s_mov_b32 s5, 0
	.p2align	6
.LBB4_485:                              ; =>This Inner Loop Header: Depth=1
	s_sleep 1
	s_clause 0x1
	global_load_b64 v[4:5], v3, s[2:3] offset:40
	global_load_b64 v[10:11], v3, s[2:3]
	v_dual_mov_b32 v6, v8 :: v_dual_mov_b32 v7, v9
	s_waitcnt vmcnt(1)
	s_delay_alu instid0(VALU_DEP_1) | instskip(NEXT) | instid1(VALU_DEP_2)
	v_and_b32_e32 v4, v4, v6
	v_and_b32_e32 v5, v5, v7
	s_waitcnt vmcnt(0)
	s_delay_alu instid0(VALU_DEP_2) | instskip(NEXT) | instid1(VALU_DEP_1)
	v_mad_u64_u32 v[8:9], null, v4, 24, v[10:11]
	v_mov_b32_e32 v4, v9
	s_delay_alu instid0(VALU_DEP_1)
	v_mad_u64_u32 v[9:10], null, v5, 24, v[4:5]
	global_load_b64 v[4:5], v[8:9], off glc
	s_waitcnt vmcnt(0)
	global_atomic_cmpswap_b64 v[8:9], v3, v[4:7], s[2:3] offset:24 glc
	s_waitcnt vmcnt(0)
	buffer_gl1_inv
	buffer_gl0_inv
	v_cmp_eq_u64_e32 vcc_lo, v[8:9], v[6:7]
	s_or_b32 s5, vcc_lo, s5
	s_delay_alu instid0(SALU_CYCLE_1)
	s_and_not1_b32 exec_lo, exec_lo, s5
	s_cbranch_execnz .LBB4_485
; %bb.486:
	s_or_b32 exec_lo, exec_lo, s5
.LBB4_487:
	s_delay_alu instid0(SALU_CYCLE_1)
	s_or_b32 exec_lo, exec_lo, s4
.LBB4_488:
	s_delay_alu instid0(SALU_CYCLE_1)
	s_or_b32 exec_lo, exec_lo, s1
	v_mov_b32_e32 v3, 0
	v_readfirstlane_b32 s4, v8
	v_readfirstlane_b32 s5, v9
	s_mov_b32 s1, exec_lo
	s_clause 0x1
	global_load_b64 v[10:11], v3, s[2:3] offset:40
	global_load_b128 v[4:7], v3, s[2:3]
	s_waitcnt vmcnt(1)
	v_readfirstlane_b32 s6, v10
	v_readfirstlane_b32 s7, v11
	s_delay_alu instid0(VALU_DEP_1) | instskip(NEXT) | instid1(SALU_CYCLE_1)
	s_and_b64 s[6:7], s[4:5], s[6:7]
	s_mul_i32 s8, s7, 24
	s_mul_hi_u32 s9, s6, 24
	s_mul_i32 s10, s6, 24
	s_add_i32 s9, s9, s8
	s_waitcnt vmcnt(0)
	v_add_co_u32 v8, vcc_lo, v4, s10
	v_add_co_ci_u32_e32 v9, vcc_lo, s9, v5, vcc_lo
	s_and_saveexec_b32 s8, s0
	s_cbranch_execz .LBB4_490
; %bb.489:
	v_dual_mov_b32 v10, s1 :: v_dual_mov_b32 v11, v3
	v_dual_mov_b32 v12, 2 :: v_dual_mov_b32 v13, 1
	global_store_b128 v[8:9], v[10:13], off offset:8
.LBB4_490:
	s_or_b32 exec_lo, exec_lo, s8
	s_lshl_b64 s[6:7], s[6:7], 12
	s_mov_b32 s8, 0
	v_add_co_u32 v6, vcc_lo, v6, s6
	v_add_co_ci_u32_e32 v7, vcc_lo, s7, v7, vcc_lo
	s_mov_b32 s11, s8
	s_mov_b32 s9, s8
	;; [unrolled: 1-line block ×3, first 2 shown]
	v_and_or_b32 v0, 0xffffff1d, v0, 34
	v_readfirstlane_b32 s6, v6
	v_readfirstlane_b32 s7, v7
	v_dual_mov_b32 v13, s11 :: v_dual_mov_b32 v12, s10
	v_dual_mov_b32 v11, s9 :: v_dual_mov_b32 v10, s8
	s_clause 0x3
	global_store_b128 v32, v[0:3], s[6:7]
	global_store_b128 v32, v[10:13], s[6:7] offset:16
	global_store_b128 v32, v[10:13], s[6:7] offset:32
	global_store_b128 v32, v[10:13], s[6:7] offset:48
	s_and_saveexec_b32 s1, s0
	s_cbranch_execz .LBB4_498
; %bb.491:
	v_dual_mov_b32 v6, 0 :: v_dual_mov_b32 v11, s5
	v_mov_b32_e32 v10, s4
	s_clause 0x1
	global_load_b64 v[12:13], v6, s[2:3] offset:32 glc
	global_load_b64 v[0:1], v6, s[2:3] offset:40
	s_waitcnt vmcnt(0)
	v_readfirstlane_b32 s6, v0
	v_readfirstlane_b32 s7, v1
	s_delay_alu instid0(VALU_DEP_1) | instskip(NEXT) | instid1(SALU_CYCLE_1)
	s_and_b64 s[6:7], s[6:7], s[4:5]
	s_mul_i32 s7, s7, 24
	s_mul_hi_u32 s8, s6, 24
	s_mul_i32 s6, s6, 24
	s_add_i32 s8, s8, s7
	v_add_co_u32 v4, vcc_lo, v4, s6
	v_add_co_ci_u32_e32 v5, vcc_lo, s8, v5, vcc_lo
	s_mov_b32 s6, exec_lo
	global_store_b64 v[4:5], v[12:13], off
	s_waitcnt_vscnt null, 0x0
	global_atomic_cmpswap_b64 v[2:3], v6, v[10:13], s[2:3] offset:32 glc
	s_waitcnt vmcnt(0)
	v_cmpx_ne_u64_e64 v[2:3], v[12:13]
	s_cbranch_execz .LBB4_494
; %bb.492:
	s_mov_b32 s7, 0
.LBB4_493:                              ; =>This Inner Loop Header: Depth=1
	v_dual_mov_b32 v0, s4 :: v_dual_mov_b32 v1, s5
	s_sleep 1
	global_store_b64 v[4:5], v[2:3], off
	s_waitcnt_vscnt null, 0x0
	global_atomic_cmpswap_b64 v[0:1], v6, v[0:3], s[2:3] offset:32 glc
	s_waitcnt vmcnt(0)
	v_cmp_eq_u64_e32 vcc_lo, v[0:1], v[2:3]
	v_dual_mov_b32 v3, v1 :: v_dual_mov_b32 v2, v0
	s_or_b32 s7, vcc_lo, s7
	s_delay_alu instid0(SALU_CYCLE_1)
	s_and_not1_b32 exec_lo, exec_lo, s7
	s_cbranch_execnz .LBB4_493
.LBB4_494:
	s_or_b32 exec_lo, exec_lo, s6
	v_mov_b32_e32 v3, 0
	s_mov_b32 s7, exec_lo
	s_mov_b32 s6, exec_lo
	v_mbcnt_lo_u32_b32 v2, s7, 0
	global_load_b64 v[0:1], v3, s[2:3] offset:16
	v_cmpx_eq_u32_e32 0, v2
	s_cbranch_execz .LBB4_496
; %bb.495:
	s_bcnt1_i32_b32 s7, s7
	s_delay_alu instid0(SALU_CYCLE_1)
	v_mov_b32_e32 v2, s7
	s_waitcnt vmcnt(0)
	global_atomic_add_u64 v[0:1], v[2:3], off offset:8
.LBB4_496:
	s_or_b32 exec_lo, exec_lo, s6
	s_waitcnt vmcnt(0)
	global_load_b64 v[2:3], v[0:1], off offset:16
	s_waitcnt vmcnt(0)
	v_cmp_eq_u64_e32 vcc_lo, 0, v[2:3]
	s_cbranch_vccnz .LBB4_498
; %bb.497:
	global_load_b32 v0, v[0:1], off offset:24
	s_waitcnt vmcnt(0)
	v_dual_mov_b32 v1, 0 :: v_dual_and_b32 v4, 0xffffff, v0
	s_waitcnt_vscnt null, 0x0
	global_store_b64 v[2:3], v[0:1], off
	v_readfirstlane_b32 m0, v4
	s_sendmsg sendmsg(MSG_INTERRUPT)
.LBB4_498:
	s_or_b32 exec_lo, exec_lo, s1
	s_branch .LBB4_502
	.p2align	6
.LBB4_499:                              ;   in Loop: Header=BB4_502 Depth=1
	s_or_b32 exec_lo, exec_lo, s1
	s_delay_alu instid0(VALU_DEP_1) | instskip(NEXT) | instid1(VALU_DEP_1)
	v_readfirstlane_b32 s1, v0
	s_cmp_eq_u32 s1, 0
	s_cbranch_scc1 .LBB4_501
; %bb.500:                              ;   in Loop: Header=BB4_502 Depth=1
	s_sleep 1
	s_cbranch_execnz .LBB4_502
	s_branch .LBB4_504
	.p2align	6
.LBB4_501:
	s_branch .LBB4_504
.LBB4_502:                              ; =>This Inner Loop Header: Depth=1
	v_mov_b32_e32 v0, 1
	s_and_saveexec_b32 s1, s0
	s_cbranch_execz .LBB4_499
; %bb.503:                              ;   in Loop: Header=BB4_502 Depth=1
	global_load_b32 v0, v[8:9], off offset:20 glc
	s_waitcnt vmcnt(0)
	buffer_gl1_inv
	buffer_gl0_inv
	v_and_b32_e32 v0, 1, v0
	s_branch .LBB4_499
.LBB4_504:
	s_and_b32 exec_lo, exec_lo, s0
	s_cbranch_execz .LBB4_508
; %bb.505:
	v_mov_b32_e32 v6, 0
	s_clause 0x2
	global_load_b64 v[2:3], v6, s[2:3] offset:40
	global_load_b64 v[7:8], v6, s[2:3] offset:24 glc
	global_load_b64 v[4:5], v6, s[2:3]
	s_waitcnt vmcnt(2)
	v_add_co_u32 v9, vcc_lo, v2, 1
	v_add_co_ci_u32_e32 v10, vcc_lo, 0, v3, vcc_lo
	s_delay_alu instid0(VALU_DEP_2) | instskip(NEXT) | instid1(VALU_DEP_2)
	v_add_co_u32 v0, vcc_lo, v9, s4
	v_add_co_ci_u32_e32 v1, vcc_lo, s5, v10, vcc_lo
	s_delay_alu instid0(VALU_DEP_1) | instskip(SKIP_1) | instid1(VALU_DEP_1)
	v_cmp_eq_u64_e32 vcc_lo, 0, v[0:1]
	v_dual_cndmask_b32 v1, v1, v10 :: v_dual_cndmask_b32 v0, v0, v9
	v_and_b32_e32 v3, v1, v3
	s_delay_alu instid0(VALU_DEP_2) | instskip(NEXT) | instid1(VALU_DEP_2)
	v_and_b32_e32 v2, v0, v2
	v_mul_lo_u32 v3, v3, 24
	s_delay_alu instid0(VALU_DEP_2) | instskip(SKIP_1) | instid1(VALU_DEP_2)
	v_mul_hi_u32 v9, v2, 24
	v_mul_lo_u32 v2, v2, 24
	v_add_nc_u32_e32 v3, v9, v3
	s_waitcnt vmcnt(0)
	s_delay_alu instid0(VALU_DEP_2) | instskip(SKIP_1) | instid1(VALU_DEP_3)
	v_add_co_u32 v4, vcc_lo, v4, v2
	v_mov_b32_e32 v2, v7
	v_add_co_ci_u32_e32 v5, vcc_lo, v5, v3, vcc_lo
	v_mov_b32_e32 v3, v8
	global_store_b64 v[4:5], v[7:8], off
	s_waitcnt_vscnt null, 0x0
	global_atomic_cmpswap_b64 v[2:3], v6, v[0:3], s[2:3] offset:24 glc
	s_waitcnt vmcnt(0)
	v_cmp_ne_u64_e32 vcc_lo, v[2:3], v[7:8]
	s_and_b32 exec_lo, exec_lo, vcc_lo
	s_cbranch_execz .LBB4_508
; %bb.506:
	s_mov_b32 s0, 0
.LBB4_507:                              ; =>This Inner Loop Header: Depth=1
	s_sleep 1
	global_store_b64 v[4:5], v[2:3], off
	s_waitcnt_vscnt null, 0x0
	global_atomic_cmpswap_b64 v[7:8], v6, v[0:3], s[2:3] offset:24 glc
	s_waitcnt vmcnt(0)
	v_cmp_eq_u64_e32 vcc_lo, v[7:8], v[2:3]
	v_dual_mov_b32 v2, v7 :: v_dual_mov_b32 v3, v8
	s_or_b32 s0, vcc_lo, s0
	s_delay_alu instid0(SALU_CYCLE_1)
	s_and_not1_b32 exec_lo, exec_lo, s0
	s_cbranch_execnz .LBB4_507
.LBB4_508:
	s_nop 0
	s_sendmsg sendmsg(MSG_DEALLOC_VGPRS)
	s_endpgm
	.section	.rodata,"a",@progbits
	.p2align	6, 0x0
	.amdhsa_kernel _Z30kernel_coalesced_active_groupsv
		.amdhsa_group_segment_fixed_size 0
		.amdhsa_private_segment_fixed_size 0
		.amdhsa_kernarg_size 256
		.amdhsa_user_sgpr_count 15
		.amdhsa_user_sgpr_dispatch_ptr 0
		.amdhsa_user_sgpr_queue_ptr 0
		.amdhsa_user_sgpr_kernarg_segment_ptr 1
		.amdhsa_user_sgpr_dispatch_id 0
		.amdhsa_user_sgpr_private_segment_size 0
		.amdhsa_wavefront_size32 1
		.amdhsa_uses_dynamic_stack 0
		.amdhsa_enable_private_segment 0
		.amdhsa_system_sgpr_workgroup_id_x 1
		.amdhsa_system_sgpr_workgroup_id_y 0
		.amdhsa_system_sgpr_workgroup_id_z 0
		.amdhsa_system_sgpr_workgroup_info 0
		.amdhsa_system_vgpr_workitem_id 2
		.amdhsa_next_free_vgpr 35
		.amdhsa_next_free_sgpr 24
		.amdhsa_reserve_vcc 1
		.amdhsa_float_round_mode_32 0
		.amdhsa_float_round_mode_16_64 0
		.amdhsa_float_denorm_mode_32 3
		.amdhsa_float_denorm_mode_16_64 3
		.amdhsa_dx10_clamp 1
		.amdhsa_ieee_mode 1
		.amdhsa_fp16_overflow 0
		.amdhsa_workgroup_processor_mode 1
		.amdhsa_memory_ordered 1
		.amdhsa_forward_progress 0
		.amdhsa_shared_vgpr_count 0
		.amdhsa_exception_fp_ieee_invalid_op 0
		.amdhsa_exception_fp_denorm_src 0
		.amdhsa_exception_fp_ieee_div_zero 0
		.amdhsa_exception_fp_ieee_overflow 0
		.amdhsa_exception_fp_ieee_underflow 0
		.amdhsa_exception_fp_ieee_inexact 0
		.amdhsa_exception_int_div_zero 0
	.end_amdhsa_kernel
	.text
.Lfunc_end4:
	.size	_Z30kernel_coalesced_active_groupsv, .Lfunc_end4-_Z30kernel_coalesced_active_groupsv
                                        ; -- End function
	.section	.AMDGPU.csdata,"",@progbits
; Kernel info:
; codeLenInByte = 20644
; NumSgprs: 26
; NumVgprs: 35
; ScratchSize: 0
; MemoryBound: 0
; FloatMode: 240
; IeeeMode: 1
; LDSByteSize: 0 bytes/workgroup (compile time only)
; SGPRBlocks: 3
; VGPRBlocks: 4
; NumSGPRsForWavesPerEU: 26
; NumVGPRsForWavesPerEU: 35
; Occupancy: 16
; WaveLimiterHint : 1
; COMPUTE_PGM_RSRC2:SCRATCH_EN: 0
; COMPUTE_PGM_RSRC2:USER_SGPR: 15
; COMPUTE_PGM_RSRC2:TRAP_HANDLER: 0
; COMPUTE_PGM_RSRC2:TGID_X_EN: 1
; COMPUTE_PGM_RSRC2:TGID_Y_EN: 0
; COMPUTE_PGM_RSRC2:TGID_Z_EN: 0
; COMPUTE_PGM_RSRC2:TIDIG_COMP_CNT: 2
	.text
	.p2alignl 7, 3214868480
	.fill 96, 4, 3214868480
	.type	.str,@object                    ; @.str
	.section	.rodata.str1.1,"aMS",@progbits,1
.str:
	.asciz	" Sum of all ranks 0..%d in coalesced_group is %d\n\n"
	.size	.str, 51

	.type	.str.1,@object                  ; @.str.1
.str.1:
	.asciz	" Creating %d groups, of tile size %d threads:\n\n"
	.size	.str.1, 48

	.type	.str.2,@object                  ; @.str.2
.str.2:
	.asciz	"   Sum of all ranks 0..%d in this tiledPartition group is %d. Corresponding parent thread rank obtained from meta_group_rank : %d and number of tiles created : %d\n"
	.size	.str.2, 164

	.type	.str.3,@object                  ; @.str.3
.str.3:
	.asciz	" Creating odd and even set of active thread groups based on branch divergence\n\n"
	.size	.str.3, 80

	.type	.str.4,@object                  ; @.str.4
.str.4:
	.asciz	" ODD: Size of odd set of active threads is %d. Corresponding parent thread_rank is %d.\n\n"
	.size	.str.4, 89

	.type	.str.5,@object                  ; @.str.5
.str.5:
	.asciz	" EVEN: Size of even set of active threads is %d. Corresponding parent thread_rank is %d."
	.size	.str.5, 89

	.type	__hip_cuid_6a5ef06f303a6329,@object ; @__hip_cuid_6a5ef06f303a6329
	.section	.bss,"aw",@nobits
	.globl	__hip_cuid_6a5ef06f303a6329
__hip_cuid_6a5ef06f303a6329:
	.byte	0                               ; 0x0
	.size	__hip_cuid_6a5ef06f303a6329, 1

	.ident	"AMD clang version 19.0.0git (https://github.com/RadeonOpenCompute/llvm-project roc-6.4.0 25133 c7fe45cf4b819c5991fe208aaa96edf142730f1d)"
	.section	".note.GNU-stack","",@progbits
	.addrsig
	.addrsig_sym __hip_cuid_6a5ef06f303a6329
	.amdgpu_metadata
---
amdhsa.kernels:
  - .args:
      - .address_space:  global
        .offset:         0
        .size:           8
        .value_kind:     global_buffer
      - .address_space:  global
        .offset:         8
        .size:           8
        .value_kind:     global_buffer
      - .offset:         16
        .size:           4
        .value_kind:     by_value
      - .offset:         20
        .size:           4
        .value_kind:     by_value
      - .offset:         24
        .size:           4
        .value_kind:     hidden_block_count_x
      - .offset:         28
        .size:           4
        .value_kind:     hidden_block_count_y
      - .offset:         32
        .size:           4
        .value_kind:     hidden_block_count_z
      - .offset:         36
        .size:           2
        .value_kind:     hidden_group_size_x
      - .offset:         38
        .size:           2
        .value_kind:     hidden_group_size_y
      - .offset:         40
        .size:           2
        .value_kind:     hidden_group_size_z
      - .offset:         42
        .size:           2
        .value_kind:     hidden_remainder_x
      - .offset:         44
        .size:           2
        .value_kind:     hidden_remainder_y
      - .offset:         46
        .size:           2
        .value_kind:     hidden_remainder_z
      - .offset:         64
        .size:           8
        .value_kind:     hidden_global_offset_x
      - .offset:         72
        .size:           8
        .value_kind:     hidden_global_offset_y
      - .offset:         80
        .size:           8
        .value_kind:     hidden_global_offset_z
      - .offset:         88
        .size:           2
        .value_kind:     hidden_grid_dims
    .group_segment_fixed_size: 0
    .kernarg_segment_align: 8
    .kernarg_segment_size: 280
    .language:       OpenCL C
    .language_version:
      - 2
      - 0
    .max_flat_workgroup_size: 1024
    .name:           _Z11kernel_shflPiS_ii
    .private_segment_fixed_size: 0
    .sgpr_count:     18
    .sgpr_spill_count: 0
    .symbol:         _Z11kernel_shflPiS_ii.kd
    .uniform_work_group_size: 1
    .uses_dynamic_stack: false
    .vgpr_count:     5
    .vgpr_spill_count: 0
    .wavefront_size: 32
    .workgroup_processor_mode: 1
  - .args:
      - .address_space:  global
        .offset:         0
        .size:           8
        .value_kind:     global_buffer
      - .address_space:  global
        .offset:         8
        .size:           8
        .value_kind:     global_buffer
      - .address_space:  global
        .offset:         16
        .size:           8
        .value_kind:     global_buffer
      - .offset:         24
        .size:           4
        .value_kind:     by_value
      - .offset:         32
        .size:           4
        .value_kind:     hidden_block_count_x
      - .offset:         36
        .size:           4
        .value_kind:     hidden_block_count_y
      - .offset:         40
        .size:           4
        .value_kind:     hidden_block_count_z
      - .offset:         44
        .size:           2
        .value_kind:     hidden_group_size_x
      - .offset:         46
        .size:           2
        .value_kind:     hidden_group_size_y
      - .offset:         48
        .size:           2
        .value_kind:     hidden_group_size_z
      - .offset:         50
        .size:           2
        .value_kind:     hidden_remainder_x
      - .offset:         52
        .size:           2
        .value_kind:     hidden_remainder_y
      - .offset:         54
        .size:           2
        .value_kind:     hidden_remainder_z
      - .offset:         72
        .size:           8
        .value_kind:     hidden_global_offset_x
      - .offset:         80
        .size:           8
        .value_kind:     hidden_global_offset_y
      - .offset:         88
        .size:           8
        .value_kind:     hidden_global_offset_z
      - .offset:         96
        .size:           2
        .value_kind:     hidden_grid_dims
    .group_segment_fixed_size: 0
    .kernarg_segment_align: 8
    .kernarg_segment_size: 288
    .language:       OpenCL C
    .language_version:
      - 2
      - 0
    .max_flat_workgroup_size: 1024
    .name:           _Z22kernel_shfl_any_to_anyPiS_S_i
    .private_segment_fixed_size: 0
    .sgpr_count:     18
    .sgpr_spill_count: 0
    .symbol:         _Z22kernel_shfl_any_to_anyPiS_S_i.kd
    .uniform_work_group_size: 1
    .uses_dynamic_stack: false
    .vgpr_count:     10
    .vgpr_spill_count: 0
    .wavefront_size: 32
    .workgroup_processor_mode: 1
  - .args:
      - .address_space:  global
        .offset:         0
        .size:           8
        .value_kind:     global_buffer
      - .address_space:  global
        .offset:         8
        .size:           8
        .value_kind:     global_buffer
      - .address_space:  global
        .offset:         16
        .size:           8
        .value_kind:     global_buffer
      - .offset:         24
        .size:           4
        .value_kind:     by_value
      - .offset:         32
        .size:           4
        .value_kind:     hidden_block_count_x
      - .offset:         36
        .size:           4
        .value_kind:     hidden_block_count_y
      - .offset:         40
        .size:           4
        .value_kind:     hidden_block_count_z
      - .offset:         44
        .size:           2
        .value_kind:     hidden_group_size_x
      - .offset:         46
        .size:           2
        .value_kind:     hidden_group_size_y
      - .offset:         48
        .size:           2
        .value_kind:     hidden_group_size_z
      - .offset:         50
        .size:           2
        .value_kind:     hidden_remainder_x
      - .offset:         52
        .size:           2
        .value_kind:     hidden_remainder_y
      - .offset:         54
        .size:           2
        .value_kind:     hidden_remainder_z
      - .offset:         72
        .size:           8
        .value_kind:     hidden_global_offset_x
      - .offset:         80
        .size:           8
        .value_kind:     hidden_global_offset_y
      - .offset:         88
        .size:           8
        .value_kind:     hidden_global_offset_z
      - .offset:         96
        .size:           2
        .value_kind:     hidden_grid_dims
    .group_segment_fixed_size: 0
    .kernarg_segment_align: 8
    .kernarg_segment_size: 288
    .language:       OpenCL C
    .language_version:
      - 2
      - 0
    .max_flat_workgroup_size: 1024
    .name:           _Z10filter_arrPiS_PKii
    .private_segment_fixed_size: 0
    .sgpr_count:     18
    .sgpr_spill_count: 0
    .symbol:         _Z10filter_arrPiS_PKii.kd
    .uniform_work_group_size: 1
    .uses_dynamic_stack: false
    .vgpr_count:     8
    .vgpr_spill_count: 0
    .wavefront_size: 32
    .workgroup_processor_mode: 1
  - .args:
      - .offset:         0
        .size:           4
        .value_kind:     by_value
      - .address_space:  global
        .offset:         8
        .size:           8
        .value_kind:     global_buffer
      - .offset:         16
        .size:           1
        .value_kind:     by_value
      - .address_space:  global
        .offset:         24
        .size:           8
        .value_kind:     global_buffer
      - .offset:         32
        .size:           4
        .value_kind:     by_value
      - .offset:         40
        .size:           4
        .value_kind:     hidden_block_count_x
      - .offset:         44
        .size:           4
        .value_kind:     hidden_block_count_y
      - .offset:         48
        .size:           4
        .value_kind:     hidden_block_count_z
      - .offset:         52
        .size:           2
        .value_kind:     hidden_group_size_x
      - .offset:         54
        .size:           2
        .value_kind:     hidden_group_size_y
      - .offset:         56
        .size:           2
        .value_kind:     hidden_group_size_z
      - .offset:         58
        .size:           2
        .value_kind:     hidden_remainder_x
      - .offset:         60
        .size:           2
        .value_kind:     hidden_remainder_y
      - .offset:         62
        .size:           2
        .value_kind:     hidden_remainder_z
      - .offset:         80
        .size:           8
        .value_kind:     hidden_global_offset_x
      - .offset:         88
        .size:           8
        .value_kind:     hidden_global_offset_y
      - .offset:         96
        .size:           8
        .value_kind:     hidden_global_offset_z
      - .offset:         104
        .size:           2
        .value_kind:     hidden_grid_dims
      - .offset:         120
        .size:           8
        .value_kind:     hidden_hostcall_buffer
      - .offset:         160
        .size:           4
        .value_kind:     hidden_dynamic_lds_size
    .group_segment_fixed_size: 0
    .kernarg_segment_align: 8
    .kernarg_segment_size: 296
    .language:       OpenCL C
    .language_version:
      - 2
      - 0
    .max_flat_workgroup_size: 1024
    .name:           _Z35kernel_cg_coalesced_group_partitionjPibS_i
    .private_segment_fixed_size: 0
    .sgpr_count:     32
    .sgpr_spill_count: 0
    .symbol:         _Z35kernel_cg_coalesced_group_partitionjPibS_i.kd
    .uniform_work_group_size: 1
    .uses_dynamic_stack: false
    .vgpr_count:     38
    .vgpr_spill_count: 0
    .wavefront_size: 32
    .workgroup_processor_mode: 1
  - .args:
      - .offset:         0
        .size:           4
        .value_kind:     hidden_block_count_x
      - .offset:         4
        .size:           4
        .value_kind:     hidden_block_count_y
      - .offset:         8
        .size:           4
        .value_kind:     hidden_block_count_z
      - .offset:         12
        .size:           2
        .value_kind:     hidden_group_size_x
      - .offset:         14
        .size:           2
        .value_kind:     hidden_group_size_y
      - .offset:         16
        .size:           2
        .value_kind:     hidden_group_size_z
      - .offset:         18
        .size:           2
        .value_kind:     hidden_remainder_x
      - .offset:         20
        .size:           2
        .value_kind:     hidden_remainder_y
      - .offset:         22
        .size:           2
        .value_kind:     hidden_remainder_z
      - .offset:         40
        .size:           8
        .value_kind:     hidden_global_offset_x
      - .offset:         48
        .size:           8
        .value_kind:     hidden_global_offset_y
      - .offset:         56
        .size:           8
        .value_kind:     hidden_global_offset_z
      - .offset:         64
        .size:           2
        .value_kind:     hidden_grid_dims
      - .offset:         80
        .size:           8
        .value_kind:     hidden_hostcall_buffer
    .group_segment_fixed_size: 0
    .kernarg_segment_align: 8
    .kernarg_segment_size: 256
    .language:       OpenCL C
    .language_version:
      - 2
      - 0
    .max_flat_workgroup_size: 1024
    .name:           _Z30kernel_coalesced_active_groupsv
    .private_segment_fixed_size: 0
    .sgpr_count:     26
    .sgpr_spill_count: 0
    .symbol:         _Z30kernel_coalesced_active_groupsv.kd
    .uniform_work_group_size: 1
    .uses_dynamic_stack: false
    .vgpr_count:     35
    .vgpr_spill_count: 0
    .wavefront_size: 32
    .workgroup_processor_mode: 1
amdhsa.target:   amdgcn-amd-amdhsa--gfx1100
amdhsa.version:
  - 1
  - 2
...

	.end_amdgpu_metadata
